;; amdgpu-corpus repo=ROCm/rocSPARSE kind=compiled arch=gfx1250 opt=O3
	.amdgcn_target "amdgcn-amd-amdhsa--gfx1250"
	.amdhsa_code_object_version 6
	.section	.text._ZN9rocsparseL28csrgeam_nnz_multipass_deviceILj256ELj32EiiiEEvllPKT1_PKT2_S3_S6_PT3_21rocsparse_index_base_S9_,"axG",@progbits,_ZN9rocsparseL28csrgeam_nnz_multipass_deviceILj256ELj32EiiiEEvllPKT1_PKT2_S3_S6_PT3_21rocsparse_index_base_S9_,comdat
	.globl	_ZN9rocsparseL28csrgeam_nnz_multipass_deviceILj256ELj32EiiiEEvllPKT1_PKT2_S3_S6_PT3_21rocsparse_index_base_S9_ ; -- Begin function _ZN9rocsparseL28csrgeam_nnz_multipass_deviceILj256ELj32EiiiEEvllPKT1_PKT2_S3_S6_PT3_21rocsparse_index_base_S9_
	.p2align	8
	.type	_ZN9rocsparseL28csrgeam_nnz_multipass_deviceILj256ELj32EiiiEEvllPKT1_PKT2_S3_S6_PT3_21rocsparse_index_base_S9_,@function
_ZN9rocsparseL28csrgeam_nnz_multipass_deviceILj256ELj32EiiiEEvllPKT1_PKT2_S3_S6_PT3_21rocsparse_index_base_S9_: ; @_ZN9rocsparseL28csrgeam_nnz_multipass_deviceILj256ELj32EiiiEEvllPKT1_PKT2_S3_S6_PT3_21rocsparse_index_base_S9_
; %bb.0:
	s_load_b128 s[4:7], s[0:1], 0x0
	s_bfe_u32 s2, ttmp6, 0x4000c
	s_and_b32 s3, ttmp6, 15
	s_add_co_i32 s2, s2, 1
	s_getreg_b32 s8, hwreg(HW_REG_IB_STS2, 6, 4)
	s_mul_i32 s2, ttmp9, s2
	v_dual_lshrrev_b32 v1, 5, v0 :: v_dual_mov_b32 v3, 0
	s_add_co_i32 s3, s3, s2
	s_cmp_eq_u32 s8, 0
	s_cselect_b32 s2, ttmp9, s3
	s_delay_alu instid0(SALU_CYCLE_1) | instskip(NEXT) | instid1(SALU_CYCLE_1)
	s_lshl_b32 s2, s2, 3
	v_and_or_b32 v2, 0x7fffff8, s2, v1
	s_mov_b32 s2, exec_lo
	s_wait_kmcnt 0x0
	s_delay_alu instid0(VALU_DEP_1)
	v_cmpx_gt_i64_e64 s[4:5], v[2:3]
	s_cbranch_execz .LBB0_31
; %bb.1:
	s_clause 0x1
	s_load_b128 s[8:11], s[0:1], 0x10
	s_load_b64 s[2:3], s[0:1], 0x20
	v_lshlrev_b32_e32 v1, 2, v2
	s_mov_b32 s4, exec_lo
	s_wait_kmcnt 0x0
	s_clause 0x1
	global_load_b64 v[6:7], v1, s[8:9]
	global_load_b64 v[4:5], v1, s[2:3]
	s_wait_xcnt 0x0
	s_load_b64 s[2:3], s[0:1], 0x38
	s_wait_loadcnt 0x1
	v_cmpx_ge_i32_e64 v6, v7
	s_xor_b32 s4, exec_lo, s4
	s_delay_alu instid0(SALU_CYCLE_1)
	s_or_saveexec_b32 s4, s4
	s_wait_kmcnt 0x0
	v_subrev_nc_u32_e32 v1, s2, v6
	v_mov_b32_e32 v8, s6
	s_xor_b32 exec_lo, exec_lo, s4
	s_cbranch_execz .LBB0_3
; %bb.2:
	global_load_b32 v3, v1, s[10:11] scale_offset
	s_wait_loadcnt 0x0
	v_subrev_nc_u32_e32 v8, s2, v3
.LBB0_3:
	s_or_b32 exec_lo, exec_lo, s4
	s_load_b64 s[4:5], s[0:1], 0x28
	v_mov_b32_e32 v3, s6
	s_mov_b32 s8, exec_lo
	s_wait_loadcnt 0x0
	v_cmpx_ge_i32_e64 v4, v5
	s_xor_b32 s8, exec_lo, s8
; %bb.4:
	v_mov_b32_e32 v3, s6
; %bb.5:
	s_or_saveexec_b32 s12, s8
	s_load_b64 s[8:9], s[0:1], 0x30
	v_subrev_nc_u32_e32 v9, s3, v4
	s_delay_alu instid0(VALU_DEP_2)
	v_mov_b32_e32 v10, v3
	s_xor_b32 exec_lo, exec_lo, s12
	s_cbranch_execz .LBB0_7
; %bb.6:
	s_wait_kmcnt 0x0
	global_load_b32 v4, v9, s[4:5] scale_offset
	s_wait_loadcnt 0x0
	v_subrev_nc_u32_e32 v10, s3, v4
.LBB0_7:
	s_or_b32 exec_lo, exec_lo, s12
	v_mbcnt_lo_u32_b32 v11, -1, 0
	v_and_b32_e32 v4, 31, v0
	v_and_b32_e32 v6, 0xe0, v0
	v_subrev_nc_u32_e32 v7, s2, v7
	v_subrev_nc_u32_e32 v5, s3, v5
	v_xor_b32_e32 v12, 16, v11
	v_xor_b32_e32 v13, 2, v11
	v_min_i32_e32 v0, v10, v8
	v_dual_add_nc_u32 v8, v1, v4 :: v_dual_mov_b32 v16, 0
	v_mov_b32_e32 v17, 1
	v_cmp_gt_i32_e32 vcc_lo, 32, v12
	v_xor_b32_e32 v1, 8, v11
	s_wait_xcnt 0x0
	s_mov_b32 s1, 0
	s_mov_b32 s12, 0
	v_cndmask_b32_e32 v10, v11, v12, vcc_lo
	v_cmp_gt_i32_e32 vcc_lo, 32, v1
	v_xor_b32_e32 v14, 1, v11
	s_delay_alu instid0(VALU_DEP_3) | instskip(SKIP_1) | instid1(VALU_DEP_2)
	v_dual_lshlrev_b32 v10, 2, v10 :: v_dual_bitop2_b32 v12, 4, v11 bitop3:0x14
	v_dual_cndmask_b32 v1, v11, v1, vcc_lo :: v_dual_add_nc_u32 v9, v9, v4
	v_cmp_gt_i32_e32 vcc_lo, 32, v12
	v_add_nc_u32_e32 v15, v6, v4
	v_cndmask_b32_e32 v12, v11, v12, vcc_lo
	v_cmp_gt_i32_e32 vcc_lo, 32, v13
	v_cndmask_b32_e32 v13, v11, v13, vcc_lo
	v_cmp_gt_i32_e32 vcc_lo, 32, v14
	s_delay_alu instid0(VALU_DEP_2) | instskip(SKIP_1) | instid1(VALU_DEP_1)
	v_dual_lshlrev_b32 v12, 2, v12 :: v_dual_lshlrev_b32 v13, 2, v13
	v_dual_cndmask_b32 v14, v11, v14 :: v_dual_lshlrev_b32 v11, 2, v1
	v_lshlrev_b32_e32 v14, 2, v14
	s_branch .LBB0_10
.LBB0_8:                                ;   in Loop: Header=BB0_10 Depth=1
	s_or_b32 exec_lo, exec_lo, s14
.LBB0_9:                                ;   in Loop: Header=BB0_10 Depth=1
	s_delay_alu instid0(SALU_CYCLE_1)
	s_or_b32 exec_lo, exec_lo, s13
	s_wait_dscnt 0x0
	ds_load_u8 v18, v15
	ds_bpermute_b32 v0, v10, v1
	s_wait_dscnt 0x1
	v_cmp_ne_u16_e32 vcc_lo, 0, v18
	s_bcnt1_i32_b32 s13, vcc_lo
	s_delay_alu instid0(SALU_CYCLE_1)
	s_add_co_i32 s12, s13, s12
	s_wait_dscnt 0x0
	v_min_i32_e32 v0, v0, v1
	ds_bpermute_b32 v1, v11, v0
	s_wait_dscnt 0x0
	v_min_i32_e32 v0, v1, v0
	ds_bpermute_b32 v1, v12, v0
	;; [unrolled: 3-line block ×4, first 2 shown]
	s_wait_dscnt 0x0
	v_min_i32_e32 v0, v1, v0
	s_delay_alu instid0(VALU_DEP_1) | instskip(NEXT) | instid1(VALU_DEP_1)
	v_ashrrev_i32_e32 v1, 31, v0
	v_cmp_le_i64_e64 s0, s[6:7], v[0:1]
	v_mov_b32_e32 v1, s12
	s_or_b32 s1, s0, s1
	s_delay_alu instid0(SALU_CYCLE_1)
	s_and_not1_b32 exec_lo, exec_lo, s1
	s_cbranch_execz .LBB0_29
.LBB0_10:                               ; =>This Loop Header: Depth=1
                                        ;     Child Loop BB0_13 Depth 2
                                        ;     Child Loop BB0_23 Depth 2
	v_mov_b32_e32 v1, v3
	s_mov_b32 s13, exec_lo
	ds_store_b8 v15, v16
	s_wait_dscnt 0x0
	v_cmpx_lt_i32_e64 v8, v7
	s_cbranch_execz .LBB0_20
; %bb.11:                               ;   in Loop: Header=BB0_10 Depth=1
	v_mov_b32_e32 v1, v3
	s_mov_b32 s14, 0
	s_branch .LBB0_13
.LBB0_12:                               ;   in Loop: Header=BB0_13 Depth=2
	s_or_b32 exec_lo, exec_lo, s15
	s_delay_alu instid0(SALU_CYCLE_1) | instskip(NEXT) | instid1(SALU_CYCLE_1)
	s_and_b32 s0, exec_lo, s0
	s_or_b32 s14, s0, s14
	s_delay_alu instid0(SALU_CYCLE_1)
	s_and_not1_b32 exec_lo, exec_lo, s14
	s_cbranch_execz .LBB0_19
.LBB0_13:                               ;   Parent Loop BB0_10 Depth=1
                                        ; =>  This Inner Loop Header: Depth=2
	global_load_b32 v18, v8, s[10:11] scale_offset
	s_wait_loadcnt 0x0
	v_subrev_nc_u32_e32 v19, s2, v18
	s_delay_alu instid0(VALU_DEP_1) | instskip(NEXT) | instid1(VALU_DEP_1)
	v_sub_nc_u32_e32 v18, v19, v0
	v_cmp_lt_u32_e64 s0, 31, v18
	v_cmp_gt_u32_e32 vcc_lo, 32, v18
	s_wait_xcnt 0x0
	s_and_saveexec_b32 s15, s0
	s_delay_alu instid0(SALU_CYCLE_1)
	s_xor_b32 s0, exec_lo, s15
	s_cbranch_execnz .LBB0_16
; %bb.14:                               ;   in Loop: Header=BB0_13 Depth=2
	s_and_not1_saveexec_b32 s0, s0
	s_cbranch_execnz .LBB0_17
.LBB0_15:                               ;   in Loop: Header=BB0_13 Depth=2
	s_or_b32 exec_lo, exec_lo, s0
	s_mov_b32 s0, -1
	s_and_saveexec_b32 s15, vcc_lo
	s_cbranch_execz .LBB0_12
	s_branch .LBB0_18
.LBB0_16:                               ;   in Loop: Header=BB0_13 Depth=2
	v_min_i32_e32 v1, v19, v1
                                        ; implicit-def: $vgpr18
	s_and_not1_saveexec_b32 s0, s0
	s_cbranch_execz .LBB0_15
.LBB0_17:                               ;   in Loop: Header=BB0_13 Depth=2
	v_add_nc_u32_e32 v18, v6, v18
	ds_store_b8 v18, v17
	s_or_b32 exec_lo, exec_lo, s0
	s_mov_b32 s0, -1
	s_and_saveexec_b32 s15, vcc_lo
	s_cbranch_execz .LBB0_12
.LBB0_18:                               ;   in Loop: Header=BB0_13 Depth=2
	v_add_nc_u32_e32 v8, 32, v8
	s_delay_alu instid0(VALU_DEP_1)
	v_cmp_ge_i32_e32 vcc_lo, v8, v7
	s_or_not1_b32 s0, vcc_lo, exec_lo
	s_branch .LBB0_12
.LBB0_19:                               ;   in Loop: Header=BB0_10 Depth=1
	s_or_b32 exec_lo, exec_lo, s14
.LBB0_20:                               ;   in Loop: Header=BB0_10 Depth=1
	s_delay_alu instid0(SALU_CYCLE_1) | instskip(NEXT) | instid1(SALU_CYCLE_1)
	s_or_b32 exec_lo, exec_lo, s13
	s_mov_b32 s13, exec_lo
	v_cmpx_lt_i32_e64 v9, v5
	s_cbranch_execz .LBB0_9
; %bb.21:                               ;   in Loop: Header=BB0_10 Depth=1
	s_mov_b32 s14, 0
	s_branch .LBB0_23
.LBB0_22:                               ;   in Loop: Header=BB0_23 Depth=2
	s_or_b32 exec_lo, exec_lo, s15
	s_delay_alu instid0(SALU_CYCLE_1) | instskip(NEXT) | instid1(SALU_CYCLE_1)
	s_and_b32 s0, exec_lo, s0
	s_or_b32 s14, s0, s14
	s_delay_alu instid0(SALU_CYCLE_1)
	s_and_not1_b32 exec_lo, exec_lo, s14
	s_cbranch_execz .LBB0_8
.LBB0_23:                               ;   Parent Loop BB0_10 Depth=1
                                        ; =>  This Inner Loop Header: Depth=2
	s_wait_kmcnt 0x0
	global_load_b32 v18, v9, s[4:5] scale_offset
	s_wait_loadcnt 0x0
	v_subrev_nc_u32_e32 v19, s3, v18
	s_delay_alu instid0(VALU_DEP_1) | instskip(NEXT) | instid1(VALU_DEP_1)
	v_sub_nc_u32_e32 v18, v19, v0
	v_cmp_lt_u32_e64 s0, 31, v18
	v_cmp_gt_u32_e32 vcc_lo, 32, v18
	s_and_saveexec_b32 s15, s0
	s_delay_alu instid0(SALU_CYCLE_1)
	s_xor_b32 s0, exec_lo, s15
	s_cbranch_execnz .LBB0_26
; %bb.24:                               ;   in Loop: Header=BB0_23 Depth=2
	s_and_not1_saveexec_b32 s0, s0
	s_cbranch_execnz .LBB0_27
.LBB0_25:                               ;   in Loop: Header=BB0_23 Depth=2
	s_or_b32 exec_lo, exec_lo, s0
	s_mov_b32 s0, -1
	s_and_saveexec_b32 s15, vcc_lo
	s_cbranch_execz .LBB0_22
	s_branch .LBB0_28
.LBB0_26:                               ;   in Loop: Header=BB0_23 Depth=2
	v_min_i32_e32 v1, v19, v1
                                        ; implicit-def: $vgpr18
	s_and_not1_saveexec_b32 s0, s0
	s_cbranch_execz .LBB0_25
.LBB0_27:                               ;   in Loop: Header=BB0_23 Depth=2
	v_add_nc_u32_e32 v18, v6, v18
	ds_store_b8 v18, v17
	s_or_b32 exec_lo, exec_lo, s0
	s_mov_b32 s0, -1
	s_and_saveexec_b32 s15, vcc_lo
	s_cbranch_execz .LBB0_22
.LBB0_28:                               ;   in Loop: Header=BB0_23 Depth=2
	v_add_nc_u32_e32 v9, 32, v9
	s_delay_alu instid0(VALU_DEP_1)
	v_cmp_ge_i32_e32 vcc_lo, v9, v5
	s_or_not1_b32 s0, vcc_lo, exec_lo
	s_branch .LBB0_22
.LBB0_29:
	s_or_b32 exec_lo, exec_lo, s1
	v_cmp_eq_u32_e32 vcc_lo, 31, v4
	s_and_b32 exec_lo, exec_lo, vcc_lo
	s_cbranch_execz .LBB0_31
; %bb.30:
	s_wait_kmcnt 0x0
	global_store_b32 v2, v1, s[8:9] scale_offset
.LBB0_31:
	s_endpgm
	.section	.rodata,"a",@progbits
	.p2align	6, 0x0
	.amdhsa_kernel _ZN9rocsparseL28csrgeam_nnz_multipass_deviceILj256ELj32EiiiEEvllPKT1_PKT2_S3_S6_PT3_21rocsparse_index_base_S9_
		.amdhsa_group_segment_fixed_size 256
		.amdhsa_private_segment_fixed_size 0
		.amdhsa_kernarg_size 64
		.amdhsa_user_sgpr_count 2
		.amdhsa_user_sgpr_dispatch_ptr 0
		.amdhsa_user_sgpr_queue_ptr 0
		.amdhsa_user_sgpr_kernarg_segment_ptr 1
		.amdhsa_user_sgpr_dispatch_id 0
		.amdhsa_user_sgpr_kernarg_preload_length 0
		.amdhsa_user_sgpr_kernarg_preload_offset 0
		.amdhsa_user_sgpr_private_segment_size 0
		.amdhsa_wavefront_size32 1
		.amdhsa_uses_dynamic_stack 0
		.amdhsa_enable_private_segment 0
		.amdhsa_system_sgpr_workgroup_id_x 1
		.amdhsa_system_sgpr_workgroup_id_y 0
		.amdhsa_system_sgpr_workgroup_id_z 0
		.amdhsa_system_sgpr_workgroup_info 0
		.amdhsa_system_vgpr_workitem_id 0
		.amdhsa_next_free_vgpr 20
		.amdhsa_next_free_sgpr 16
		.amdhsa_named_barrier_count 0
		.amdhsa_reserve_vcc 1
		.amdhsa_float_round_mode_32 0
		.amdhsa_float_round_mode_16_64 0
		.amdhsa_float_denorm_mode_32 3
		.amdhsa_float_denorm_mode_16_64 3
		.amdhsa_fp16_overflow 0
		.amdhsa_memory_ordered 1
		.amdhsa_forward_progress 1
		.amdhsa_inst_pref_size 9
		.amdhsa_round_robin_scheduling 0
		.amdhsa_exception_fp_ieee_invalid_op 0
		.amdhsa_exception_fp_denorm_src 0
		.amdhsa_exception_fp_ieee_div_zero 0
		.amdhsa_exception_fp_ieee_overflow 0
		.amdhsa_exception_fp_ieee_underflow 0
		.amdhsa_exception_fp_ieee_inexact 0
		.amdhsa_exception_int_div_zero 0
	.end_amdhsa_kernel
	.section	.text._ZN9rocsparseL28csrgeam_nnz_multipass_deviceILj256ELj32EiiiEEvllPKT1_PKT2_S3_S6_PT3_21rocsparse_index_base_S9_,"axG",@progbits,_ZN9rocsparseL28csrgeam_nnz_multipass_deviceILj256ELj32EiiiEEvllPKT1_PKT2_S3_S6_PT3_21rocsparse_index_base_S9_,comdat
.Lfunc_end0:
	.size	_ZN9rocsparseL28csrgeam_nnz_multipass_deviceILj256ELj32EiiiEEvllPKT1_PKT2_S3_S6_PT3_21rocsparse_index_base_S9_, .Lfunc_end0-_ZN9rocsparseL28csrgeam_nnz_multipass_deviceILj256ELj32EiiiEEvllPKT1_PKT2_S3_S6_PT3_21rocsparse_index_base_S9_
                                        ; -- End function
	.set _ZN9rocsparseL28csrgeam_nnz_multipass_deviceILj256ELj32EiiiEEvllPKT1_PKT2_S3_S6_PT3_21rocsparse_index_base_S9_.num_vgpr, 20
	.set _ZN9rocsparseL28csrgeam_nnz_multipass_deviceILj256ELj32EiiiEEvllPKT1_PKT2_S3_S6_PT3_21rocsparse_index_base_S9_.num_agpr, 0
	.set _ZN9rocsparseL28csrgeam_nnz_multipass_deviceILj256ELj32EiiiEEvllPKT1_PKT2_S3_S6_PT3_21rocsparse_index_base_S9_.numbered_sgpr, 16
	.set _ZN9rocsparseL28csrgeam_nnz_multipass_deviceILj256ELj32EiiiEEvllPKT1_PKT2_S3_S6_PT3_21rocsparse_index_base_S9_.num_named_barrier, 0
	.set _ZN9rocsparseL28csrgeam_nnz_multipass_deviceILj256ELj32EiiiEEvllPKT1_PKT2_S3_S6_PT3_21rocsparse_index_base_S9_.private_seg_size, 0
	.set _ZN9rocsparseL28csrgeam_nnz_multipass_deviceILj256ELj32EiiiEEvllPKT1_PKT2_S3_S6_PT3_21rocsparse_index_base_S9_.uses_vcc, 1
	.set _ZN9rocsparseL28csrgeam_nnz_multipass_deviceILj256ELj32EiiiEEvllPKT1_PKT2_S3_S6_PT3_21rocsparse_index_base_S9_.uses_flat_scratch, 0
	.set _ZN9rocsparseL28csrgeam_nnz_multipass_deviceILj256ELj32EiiiEEvllPKT1_PKT2_S3_S6_PT3_21rocsparse_index_base_S9_.has_dyn_sized_stack, 0
	.set _ZN9rocsparseL28csrgeam_nnz_multipass_deviceILj256ELj32EiiiEEvllPKT1_PKT2_S3_S6_PT3_21rocsparse_index_base_S9_.has_recursion, 0
	.set _ZN9rocsparseL28csrgeam_nnz_multipass_deviceILj256ELj32EiiiEEvllPKT1_PKT2_S3_S6_PT3_21rocsparse_index_base_S9_.has_indirect_call, 0
	.section	.AMDGPU.csdata,"",@progbits
; Kernel info:
; codeLenInByte = 1136
; TotalNumSgprs: 18
; NumVgprs: 20
; ScratchSize: 0
; MemoryBound: 0
; FloatMode: 240
; IeeeMode: 1
; LDSByteSize: 256 bytes/workgroup (compile time only)
; SGPRBlocks: 0
; VGPRBlocks: 1
; NumSGPRsForWavesPerEU: 18
; NumVGPRsForWavesPerEU: 20
; NamedBarCnt: 0
; Occupancy: 16
; WaveLimiterHint : 1
; COMPUTE_PGM_RSRC2:SCRATCH_EN: 0
; COMPUTE_PGM_RSRC2:USER_SGPR: 2
; COMPUTE_PGM_RSRC2:TRAP_HANDLER: 0
; COMPUTE_PGM_RSRC2:TGID_X_EN: 1
; COMPUTE_PGM_RSRC2:TGID_Y_EN: 0
; COMPUTE_PGM_RSRC2:TGID_Z_EN: 0
; COMPUTE_PGM_RSRC2:TIDIG_COMP_CNT: 0
	.section	.text._ZN9rocsparseL28csrgeam_nnz_multipass_deviceILj256ELj32EiilEEvllPKT1_PKT2_S3_S6_PT3_21rocsparse_index_base_S9_,"axG",@progbits,_ZN9rocsparseL28csrgeam_nnz_multipass_deviceILj256ELj32EiilEEvllPKT1_PKT2_S3_S6_PT3_21rocsparse_index_base_S9_,comdat
	.globl	_ZN9rocsparseL28csrgeam_nnz_multipass_deviceILj256ELj32EiilEEvllPKT1_PKT2_S3_S6_PT3_21rocsparse_index_base_S9_ ; -- Begin function _ZN9rocsparseL28csrgeam_nnz_multipass_deviceILj256ELj32EiilEEvllPKT1_PKT2_S3_S6_PT3_21rocsparse_index_base_S9_
	.p2align	8
	.type	_ZN9rocsparseL28csrgeam_nnz_multipass_deviceILj256ELj32EiilEEvllPKT1_PKT2_S3_S6_PT3_21rocsparse_index_base_S9_,@function
_ZN9rocsparseL28csrgeam_nnz_multipass_deviceILj256ELj32EiilEEvllPKT1_PKT2_S3_S6_PT3_21rocsparse_index_base_S9_: ; @_ZN9rocsparseL28csrgeam_nnz_multipass_deviceILj256ELj32EiilEEvllPKT1_PKT2_S3_S6_PT3_21rocsparse_index_base_S9_
; %bb.0:
	s_load_b128 s[4:7], s[0:1], 0x0
	s_bfe_u32 s2, ttmp6, 0x4000c
	s_and_b32 s3, ttmp6, 15
	s_add_co_i32 s2, s2, 1
	s_getreg_b32 s8, hwreg(HW_REG_IB_STS2, 6, 4)
	s_mul_i32 s2, ttmp9, s2
	v_dual_lshrrev_b32 v1, 5, v0 :: v_dual_mov_b32 v3, 0
	s_add_co_i32 s3, s3, s2
	s_cmp_eq_u32 s8, 0
	s_cselect_b32 s2, ttmp9, s3
	s_delay_alu instid0(SALU_CYCLE_1) | instskip(NEXT) | instid1(SALU_CYCLE_1)
	s_lshl_b32 s2, s2, 3
	v_and_or_b32 v2, 0x7fffff8, s2, v1
	s_mov_b32 s2, exec_lo
	s_wait_kmcnt 0x0
	s_delay_alu instid0(VALU_DEP_1)
	v_cmpx_gt_i64_e64 s[4:5], v[2:3]
	s_cbranch_execz .LBB1_31
; %bb.1:
	s_clause 0x1
	s_load_b128 s[8:11], s[0:1], 0x10
	s_load_b64 s[2:3], s[0:1], 0x20
	v_lshlrev_b32_e32 v1, 2, v2
	s_mov_b32 s4, exec_lo
	s_wait_kmcnt 0x0
	s_clause 0x1
	global_load_b64 v[6:7], v1, s[8:9]
	global_load_b64 v[4:5], v1, s[2:3]
	s_wait_xcnt 0x0
	s_load_b64 s[2:3], s[0:1], 0x38
	s_wait_loadcnt 0x1
	v_cmpx_ge_i32_e64 v6, v7
	s_xor_b32 s4, exec_lo, s4
	s_delay_alu instid0(SALU_CYCLE_1)
	s_or_saveexec_b32 s4, s4
	s_wait_kmcnt 0x0
	v_subrev_nc_u32_e32 v1, s2, v6
	v_mov_b32_e32 v10, s6
	s_xor_b32 exec_lo, exec_lo, s4
	s_cbranch_execz .LBB1_3
; %bb.2:
	global_load_b32 v3, v1, s[10:11] scale_offset
	s_wait_loadcnt 0x0
	v_subrev_nc_u32_e32 v10, s2, v3
.LBB1_3:
	s_or_b32 exec_lo, exec_lo, s4
	s_load_b64 s[4:5], s[0:1], 0x28
	v_mov_b32_e32 v3, s6
	s_mov_b32 s8, exec_lo
	s_wait_loadcnt 0x0
	v_cmpx_ge_i32_e64 v4, v5
	s_xor_b32 s8, exec_lo, s8
; %bb.4:
	v_mov_b32_e32 v3, s6
; %bb.5:
	s_or_saveexec_b32 s12, s8
	s_load_b64 s[8:9], s[0:1], 0x30
	v_subrev_nc_u32_e32 v4, s3, v4
	s_delay_alu instid0(VALU_DEP_2)
	v_mov_b32_e32 v11, v3
	s_xor_b32 exec_lo, exec_lo, s12
	s_cbranch_execz .LBB1_7
; %bb.6:
	s_wait_kmcnt 0x0
	global_load_b32 v6, v4, s[4:5] scale_offset
	s_wait_loadcnt 0x0
	v_subrev_nc_u32_e32 v11, s3, v6
.LBB1_7:
	s_or_b32 exec_lo, exec_lo, s12
	v_mbcnt_lo_u32_b32 v12, -1, 0
	v_subrev_nc_u32_e32 v9, s3, v5
	v_and_b32_e32 v8, 0xe0, v0
	v_subrev_nc_u32_e32 v7, s2, v7
	v_dual_mov_b32 v18, 0 :: v_dual_mov_b32 v19, 1
	v_xor_b32_e32 v5, 16, v12
	v_xor_b32_e32 v13, 2, v12
	s_mov_b32 s13, 0
	s_mov_b64 s[14:15], 0
	s_wait_xcnt 0x0
	s_mov_b32 s1, 0
	v_cmp_gt_i32_e32 vcc_lo, 32, v5
	v_and_b32_e32 v6, 31, v0
	v_min_i32_e32 v0, v11, v10
	s_delay_alu instid0(VALU_DEP_2) | instskip(SKIP_3) | instid1(VALU_DEP_2)
	v_add_nc_u32_e32 v11, v4, v6
	v_dual_cndmask_b32 v4, v12, v5, vcc_lo :: v_dual_add_nc_u32 v10, v1, v6
	v_xor_b32_e32 v1, 8, v12
	v_dual_add_nc_u32 v17, v8, v6 :: v_dual_bitop2_b32 v5, 4, v12 bitop3:0x14
	v_cmp_gt_i32_e32 vcc_lo, 32, v1
	v_cndmask_b32_e32 v1, v12, v1, vcc_lo
	s_delay_alu instid0(VALU_DEP_3) | instskip(SKIP_4) | instid1(VALU_DEP_4)
	v_cmp_gt_i32_e32 vcc_lo, 32, v5
	v_dual_cndmask_b32 v5, v12, v5, vcc_lo :: v_dual_bitop2_b32 v14, 1, v12 bitop3:0x14
	v_cmp_gt_i32_e32 vcc_lo, 32, v13
	v_cndmask_b32_e32 v15, v12, v13, vcc_lo
	v_lshlrev_b32_e32 v13, 2, v1
	v_cmp_gt_i32_e32 vcc_lo, 32, v14
	s_delay_alu instid0(VALU_DEP_3) | instskip(SKIP_1) | instid1(VALU_DEP_2)
	v_dual_cndmask_b32 v16, v12, v14 :: v_dual_lshlrev_b32 v15, 2, v15
	v_dual_lshlrev_b32 v12, 2, v4 :: v_dual_lshlrev_b32 v14, 2, v5
	v_lshlrev_b32_e32 v16, 2, v16
	s_branch .LBB1_10
.LBB1_8:                                ;   in Loop: Header=BB1_10 Depth=1
	s_or_b32 exec_lo, exec_lo, s16
.LBB1_9:                                ;   in Loop: Header=BB1_10 Depth=1
	s_delay_alu instid0(SALU_CYCLE_1)
	s_or_b32 exec_lo, exec_lo, s12
	ds_bpermute_b32 v0, v12, v1
	s_wait_dscnt 0x0
	ds_load_u8 v4, v17
	v_min_i32_e32 v0, v0, v1
	s_wait_dscnt 0x0
	v_cmp_ne_u16_e32 vcc_lo, 0, v4
	ds_bpermute_b32 v1, v13, v0
	s_bcnt1_i32_b32 s12, vcc_lo
	s_delay_alu instid0(SALU_CYCLE_1) | instskip(NEXT) | instid1(SALU_CYCLE_1)
	s_add_nc_u64 s[14:15], s[14:15], s[12:13]
	v_mov_b64_e32 v[4:5], s[14:15]
	s_wait_dscnt 0x0
	v_min_i32_e32 v0, v1, v0
	ds_bpermute_b32 v1, v14, v0
	s_wait_dscnt 0x0
	v_min_i32_e32 v0, v1, v0
	ds_bpermute_b32 v1, v15, v0
	s_wait_dscnt 0x0
	v_min_i32_e32 v0, v1, v0
	ds_bpermute_b32 v1, v16, v0
	s_wait_dscnt 0x0
	v_min_i32_e32 v0, v1, v0
	s_delay_alu instid0(VALU_DEP_1) | instskip(NEXT) | instid1(VALU_DEP_1)
	v_ashrrev_i32_e32 v1, 31, v0
	v_cmp_le_i64_e64 s0, s[6:7], v[0:1]
	s_or_b32 s1, s0, s1
	s_delay_alu instid0(SALU_CYCLE_1)
	s_and_not1_b32 exec_lo, exec_lo, s1
	s_cbranch_execz .LBB1_29
.LBB1_10:                               ; =>This Loop Header: Depth=1
                                        ;     Child Loop BB1_13 Depth 2
                                        ;     Child Loop BB1_23 Depth 2
	v_mov_b32_e32 v1, v3
	s_mov_b32 s12, exec_lo
	ds_store_b8 v17, v18
	s_wait_dscnt 0x0
	v_cmpx_lt_i32_e64 v10, v7
	s_cbranch_execz .LBB1_20
; %bb.11:                               ;   in Loop: Header=BB1_10 Depth=1
	v_mov_b32_e32 v1, v3
	s_mov_b32 s16, 0
	s_branch .LBB1_13
.LBB1_12:                               ;   in Loop: Header=BB1_13 Depth=2
	s_or_b32 exec_lo, exec_lo, s17
	s_delay_alu instid0(SALU_CYCLE_1) | instskip(NEXT) | instid1(SALU_CYCLE_1)
	s_and_b32 s0, exec_lo, s0
	s_or_b32 s16, s0, s16
	s_delay_alu instid0(SALU_CYCLE_1)
	s_and_not1_b32 exec_lo, exec_lo, s16
	s_cbranch_execz .LBB1_19
.LBB1_13:                               ;   Parent Loop BB1_10 Depth=1
                                        ; =>  This Inner Loop Header: Depth=2
	global_load_b32 v4, v10, s[10:11] scale_offset
	s_wait_loadcnt 0x0
	v_subrev_nc_u32_e32 v5, s2, v4
	s_delay_alu instid0(VALU_DEP_1) | instskip(NEXT) | instid1(VALU_DEP_1)
	v_sub_nc_u32_e32 v4, v5, v0
	v_cmp_lt_u32_e64 s0, 31, v4
	v_cmp_gt_u32_e32 vcc_lo, 32, v4
	s_wait_xcnt 0x0
	s_and_saveexec_b32 s17, s0
	s_delay_alu instid0(SALU_CYCLE_1)
	s_xor_b32 s0, exec_lo, s17
	s_cbranch_execnz .LBB1_16
; %bb.14:                               ;   in Loop: Header=BB1_13 Depth=2
	s_and_not1_saveexec_b32 s0, s0
	s_cbranch_execnz .LBB1_17
.LBB1_15:                               ;   in Loop: Header=BB1_13 Depth=2
	s_or_b32 exec_lo, exec_lo, s0
	s_mov_b32 s0, -1
	s_and_saveexec_b32 s17, vcc_lo
	s_cbranch_execz .LBB1_12
	s_branch .LBB1_18
.LBB1_16:                               ;   in Loop: Header=BB1_13 Depth=2
	v_min_i32_e32 v1, v5, v1
                                        ; implicit-def: $vgpr4
	s_and_not1_saveexec_b32 s0, s0
	s_cbranch_execz .LBB1_15
.LBB1_17:                               ;   in Loop: Header=BB1_13 Depth=2
	v_add_nc_u32_e32 v4, v8, v4
	ds_store_b8 v4, v19
	s_or_b32 exec_lo, exec_lo, s0
	s_mov_b32 s0, -1
	s_and_saveexec_b32 s17, vcc_lo
	s_cbranch_execz .LBB1_12
.LBB1_18:                               ;   in Loop: Header=BB1_13 Depth=2
	v_add_nc_u32_e32 v10, 32, v10
	s_delay_alu instid0(VALU_DEP_1)
	v_cmp_ge_i32_e32 vcc_lo, v10, v7
	s_or_not1_b32 s0, vcc_lo, exec_lo
	s_branch .LBB1_12
.LBB1_19:                               ;   in Loop: Header=BB1_10 Depth=1
	s_or_b32 exec_lo, exec_lo, s16
.LBB1_20:                               ;   in Loop: Header=BB1_10 Depth=1
	s_delay_alu instid0(SALU_CYCLE_1) | instskip(NEXT) | instid1(SALU_CYCLE_1)
	s_or_b32 exec_lo, exec_lo, s12
	s_mov_b32 s12, exec_lo
	v_cmpx_lt_i32_e64 v11, v9
	s_cbranch_execz .LBB1_9
; %bb.21:                               ;   in Loop: Header=BB1_10 Depth=1
	s_mov_b32 s16, 0
	s_branch .LBB1_23
.LBB1_22:                               ;   in Loop: Header=BB1_23 Depth=2
	s_or_b32 exec_lo, exec_lo, s17
	s_delay_alu instid0(SALU_CYCLE_1) | instskip(NEXT) | instid1(SALU_CYCLE_1)
	s_and_b32 s0, exec_lo, s0
	s_or_b32 s16, s0, s16
	s_delay_alu instid0(SALU_CYCLE_1)
	s_and_not1_b32 exec_lo, exec_lo, s16
	s_cbranch_execz .LBB1_8
.LBB1_23:                               ;   Parent Loop BB1_10 Depth=1
                                        ; =>  This Inner Loop Header: Depth=2
	s_wait_kmcnt 0x0
	global_load_b32 v4, v11, s[4:5] scale_offset
	s_wait_loadcnt 0x0
	v_subrev_nc_u32_e32 v5, s3, v4
	s_delay_alu instid0(VALU_DEP_1) | instskip(NEXT) | instid1(VALU_DEP_1)
	v_sub_nc_u32_e32 v4, v5, v0
	v_cmp_lt_u32_e64 s0, 31, v4
	v_cmp_gt_u32_e32 vcc_lo, 32, v4
	s_and_saveexec_b32 s17, s0
	s_delay_alu instid0(SALU_CYCLE_1)
	s_xor_b32 s0, exec_lo, s17
	s_cbranch_execnz .LBB1_26
; %bb.24:                               ;   in Loop: Header=BB1_23 Depth=2
	s_and_not1_saveexec_b32 s0, s0
	s_cbranch_execnz .LBB1_27
.LBB1_25:                               ;   in Loop: Header=BB1_23 Depth=2
	s_or_b32 exec_lo, exec_lo, s0
	s_mov_b32 s0, -1
	s_and_saveexec_b32 s17, vcc_lo
	s_cbranch_execz .LBB1_22
	s_branch .LBB1_28
.LBB1_26:                               ;   in Loop: Header=BB1_23 Depth=2
	v_min_i32_e32 v1, v5, v1
                                        ; implicit-def: $vgpr4
	s_and_not1_saveexec_b32 s0, s0
	s_cbranch_execz .LBB1_25
.LBB1_27:                               ;   in Loop: Header=BB1_23 Depth=2
	v_add_nc_u32_e32 v4, v8, v4
	ds_store_b8 v4, v19
	s_or_b32 exec_lo, exec_lo, s0
	s_mov_b32 s0, -1
	s_and_saveexec_b32 s17, vcc_lo
	s_cbranch_execz .LBB1_22
.LBB1_28:                               ;   in Loop: Header=BB1_23 Depth=2
	v_add_nc_u32_e32 v11, 32, v11
	s_delay_alu instid0(VALU_DEP_1)
	v_cmp_ge_i32_e32 vcc_lo, v11, v9
	s_or_not1_b32 s0, vcc_lo, exec_lo
	s_branch .LBB1_22
.LBB1_29:
	s_or_b32 exec_lo, exec_lo, s1
	v_cmp_eq_u32_e32 vcc_lo, 31, v6
	s_and_b32 exec_lo, exec_lo, vcc_lo
	s_cbranch_execz .LBB1_31
; %bb.30:
	s_wait_kmcnt 0x0
	global_store_b64 v2, v[4:5], s[8:9] scale_offset
.LBB1_31:
	s_endpgm
	.section	.rodata,"a",@progbits
	.p2align	6, 0x0
	.amdhsa_kernel _ZN9rocsparseL28csrgeam_nnz_multipass_deviceILj256ELj32EiilEEvllPKT1_PKT2_S3_S6_PT3_21rocsparse_index_base_S9_
		.amdhsa_group_segment_fixed_size 256
		.amdhsa_private_segment_fixed_size 0
		.amdhsa_kernarg_size 64
		.amdhsa_user_sgpr_count 2
		.amdhsa_user_sgpr_dispatch_ptr 0
		.amdhsa_user_sgpr_queue_ptr 0
		.amdhsa_user_sgpr_kernarg_segment_ptr 1
		.amdhsa_user_sgpr_dispatch_id 0
		.amdhsa_user_sgpr_kernarg_preload_length 0
		.amdhsa_user_sgpr_kernarg_preload_offset 0
		.amdhsa_user_sgpr_private_segment_size 0
		.amdhsa_wavefront_size32 1
		.amdhsa_uses_dynamic_stack 0
		.amdhsa_enable_private_segment 0
		.amdhsa_system_sgpr_workgroup_id_x 1
		.amdhsa_system_sgpr_workgroup_id_y 0
		.amdhsa_system_sgpr_workgroup_id_z 0
		.amdhsa_system_sgpr_workgroup_info 0
		.amdhsa_system_vgpr_workitem_id 0
		.amdhsa_next_free_vgpr 20
		.amdhsa_next_free_sgpr 18
		.amdhsa_named_barrier_count 0
		.amdhsa_reserve_vcc 1
		.amdhsa_float_round_mode_32 0
		.amdhsa_float_round_mode_16_64 0
		.amdhsa_float_denorm_mode_32 3
		.amdhsa_float_denorm_mode_16_64 3
		.amdhsa_fp16_overflow 0
		.amdhsa_memory_ordered 1
		.amdhsa_forward_progress 1
		.amdhsa_inst_pref_size 9
		.amdhsa_round_robin_scheduling 0
		.amdhsa_exception_fp_ieee_invalid_op 0
		.amdhsa_exception_fp_denorm_src 0
		.amdhsa_exception_fp_ieee_div_zero 0
		.amdhsa_exception_fp_ieee_overflow 0
		.amdhsa_exception_fp_ieee_underflow 0
		.amdhsa_exception_fp_ieee_inexact 0
		.amdhsa_exception_int_div_zero 0
	.end_amdhsa_kernel
	.section	.text._ZN9rocsparseL28csrgeam_nnz_multipass_deviceILj256ELj32EiilEEvllPKT1_PKT2_S3_S6_PT3_21rocsparse_index_base_S9_,"axG",@progbits,_ZN9rocsparseL28csrgeam_nnz_multipass_deviceILj256ELj32EiilEEvllPKT1_PKT2_S3_S6_PT3_21rocsparse_index_base_S9_,comdat
.Lfunc_end1:
	.size	_ZN9rocsparseL28csrgeam_nnz_multipass_deviceILj256ELj32EiilEEvllPKT1_PKT2_S3_S6_PT3_21rocsparse_index_base_S9_, .Lfunc_end1-_ZN9rocsparseL28csrgeam_nnz_multipass_deviceILj256ELj32EiilEEvllPKT1_PKT2_S3_S6_PT3_21rocsparse_index_base_S9_
                                        ; -- End function
	.set _ZN9rocsparseL28csrgeam_nnz_multipass_deviceILj256ELj32EiilEEvllPKT1_PKT2_S3_S6_PT3_21rocsparse_index_base_S9_.num_vgpr, 20
	.set _ZN9rocsparseL28csrgeam_nnz_multipass_deviceILj256ELj32EiilEEvllPKT1_PKT2_S3_S6_PT3_21rocsparse_index_base_S9_.num_agpr, 0
	.set _ZN9rocsparseL28csrgeam_nnz_multipass_deviceILj256ELj32EiilEEvllPKT1_PKT2_S3_S6_PT3_21rocsparse_index_base_S9_.numbered_sgpr, 18
	.set _ZN9rocsparseL28csrgeam_nnz_multipass_deviceILj256ELj32EiilEEvllPKT1_PKT2_S3_S6_PT3_21rocsparse_index_base_S9_.num_named_barrier, 0
	.set _ZN9rocsparseL28csrgeam_nnz_multipass_deviceILj256ELj32EiilEEvllPKT1_PKT2_S3_S6_PT3_21rocsparse_index_base_S9_.private_seg_size, 0
	.set _ZN9rocsparseL28csrgeam_nnz_multipass_deviceILj256ELj32EiilEEvllPKT1_PKT2_S3_S6_PT3_21rocsparse_index_base_S9_.uses_vcc, 1
	.set _ZN9rocsparseL28csrgeam_nnz_multipass_deviceILj256ELj32EiilEEvllPKT1_PKT2_S3_S6_PT3_21rocsparse_index_base_S9_.uses_flat_scratch, 0
	.set _ZN9rocsparseL28csrgeam_nnz_multipass_deviceILj256ELj32EiilEEvllPKT1_PKT2_S3_S6_PT3_21rocsparse_index_base_S9_.has_dyn_sized_stack, 0
	.set _ZN9rocsparseL28csrgeam_nnz_multipass_deviceILj256ELj32EiilEEvllPKT1_PKT2_S3_S6_PT3_21rocsparse_index_base_S9_.has_recursion, 0
	.set _ZN9rocsparseL28csrgeam_nnz_multipass_deviceILj256ELj32EiilEEvllPKT1_PKT2_S3_S6_PT3_21rocsparse_index_base_S9_.has_indirect_call, 0
	.section	.AMDGPU.csdata,"",@progbits
; Kernel info:
; codeLenInByte = 1140
; TotalNumSgprs: 20
; NumVgprs: 20
; ScratchSize: 0
; MemoryBound: 0
; FloatMode: 240
; IeeeMode: 1
; LDSByteSize: 256 bytes/workgroup (compile time only)
; SGPRBlocks: 0
; VGPRBlocks: 1
; NumSGPRsForWavesPerEU: 20
; NumVGPRsForWavesPerEU: 20
; NamedBarCnt: 0
; Occupancy: 16
; WaveLimiterHint : 1
; COMPUTE_PGM_RSRC2:SCRATCH_EN: 0
; COMPUTE_PGM_RSRC2:USER_SGPR: 2
; COMPUTE_PGM_RSRC2:TRAP_HANDLER: 0
; COMPUTE_PGM_RSRC2:TGID_X_EN: 1
; COMPUTE_PGM_RSRC2:TGID_Y_EN: 0
; COMPUTE_PGM_RSRC2:TGID_Z_EN: 0
; COMPUTE_PGM_RSRC2:TIDIG_COMP_CNT: 0
	.section	.text._ZN9rocsparseL28csrgeam_nnz_multipass_deviceILj256ELj64EiiiEEvllPKT1_PKT2_S3_S6_PT3_21rocsparse_index_base_S9_,"axG",@progbits,_ZN9rocsparseL28csrgeam_nnz_multipass_deviceILj256ELj64EiiiEEvllPKT1_PKT2_S3_S6_PT3_21rocsparse_index_base_S9_,comdat
	.globl	_ZN9rocsparseL28csrgeam_nnz_multipass_deviceILj256ELj64EiiiEEvllPKT1_PKT2_S3_S6_PT3_21rocsparse_index_base_S9_ ; -- Begin function _ZN9rocsparseL28csrgeam_nnz_multipass_deviceILj256ELj64EiiiEEvllPKT1_PKT2_S3_S6_PT3_21rocsparse_index_base_S9_
	.p2align	8
	.type	_ZN9rocsparseL28csrgeam_nnz_multipass_deviceILj256ELj64EiiiEEvllPKT1_PKT2_S3_S6_PT3_21rocsparse_index_base_S9_,@function
_ZN9rocsparseL28csrgeam_nnz_multipass_deviceILj256ELj64EiiiEEvllPKT1_PKT2_S3_S6_PT3_21rocsparse_index_base_S9_: ; @_ZN9rocsparseL28csrgeam_nnz_multipass_deviceILj256ELj64EiiiEEvllPKT1_PKT2_S3_S6_PT3_21rocsparse_index_base_S9_
; %bb.0:
	s_load_b128 s[4:7], s[0:1], 0x0
	s_bfe_u32 s2, ttmp6, 0x4000c
	s_and_b32 s3, ttmp6, 15
	s_add_co_i32 s2, s2, 1
	s_getreg_b32 s8, hwreg(HW_REG_IB_STS2, 6, 4)
	s_mul_i32 s2, ttmp9, s2
	v_dual_lshrrev_b32 v1, 6, v0 :: v_dual_mov_b32 v3, 0
	s_add_co_i32 s3, s3, s2
	s_cmp_eq_u32 s8, 0
	s_cselect_b32 s2, ttmp9, s3
	s_delay_alu instid0(SALU_CYCLE_1) | instskip(NEXT) | instid1(SALU_CYCLE_1)
	s_lshl_b32 s2, s2, 2
	v_and_or_b32 v2, 0x3fffffc, s2, v1
	s_mov_b32 s2, exec_lo
	s_wait_kmcnt 0x0
	s_delay_alu instid0(VALU_DEP_1)
	v_cmpx_gt_i64_e64 s[4:5], v[2:3]
	s_cbranch_execz .LBB2_31
; %bb.1:
	s_clause 0x1
	s_load_b128 s[8:11], s[0:1], 0x10
	s_load_b64 s[2:3], s[0:1], 0x20
	v_lshlrev_b32_e32 v1, 2, v2
	s_mov_b32 s4, exec_lo
	s_wait_kmcnt 0x0
	s_clause 0x1
	global_load_b64 v[6:7], v1, s[8:9]
	global_load_b64 v[4:5], v1, s[2:3]
	s_wait_xcnt 0x0
	s_load_b64 s[2:3], s[0:1], 0x38
	s_wait_loadcnt 0x1
	v_cmpx_ge_i32_e64 v6, v7
	s_xor_b32 s4, exec_lo, s4
	s_delay_alu instid0(SALU_CYCLE_1)
	s_or_saveexec_b32 s4, s4
	s_wait_kmcnt 0x0
	v_subrev_nc_u32_e32 v1, s2, v6
	v_mov_b32_e32 v8, s6
	s_xor_b32 exec_lo, exec_lo, s4
	s_cbranch_execz .LBB2_3
; %bb.2:
	global_load_b32 v3, v1, s[10:11] scale_offset
	s_wait_loadcnt 0x0
	v_subrev_nc_u32_e32 v8, s2, v3
.LBB2_3:
	s_or_b32 exec_lo, exec_lo, s4
	s_load_b64 s[4:5], s[0:1], 0x28
	v_mov_b32_e32 v3, s6
	s_mov_b32 s8, exec_lo
	s_wait_loadcnt 0x0
	v_cmpx_ge_i32_e64 v4, v5
	s_xor_b32 s8, exec_lo, s8
; %bb.4:
	v_mov_b32_e32 v3, s6
; %bb.5:
	s_or_saveexec_b32 s12, s8
	s_load_b64 s[8:9], s[0:1], 0x30
	v_subrev_nc_u32_e32 v9, s3, v4
	s_delay_alu instid0(VALU_DEP_2)
	v_mov_b32_e32 v10, v3
	s_xor_b32 exec_lo, exec_lo, s12
	s_cbranch_execz .LBB2_7
; %bb.6:
	s_wait_kmcnt 0x0
	global_load_b32 v4, v9, s[4:5] scale_offset
	s_wait_loadcnt 0x0
	v_subrev_nc_u32_e32 v10, s3, v4
.LBB2_7:
	s_or_b32 exec_lo, exec_lo, s12
	v_mbcnt_lo_u32_b32 v11, -1, 0
	v_and_b32_e32 v4, 63, v0
	v_and_b32_e32 v6, 0xc0, v0
	v_min_i32_e32 v0, v10, v8
	v_subrev_nc_u32_e32 v7, s2, v7
	s_delay_alu instid0(VALU_DEP_4)
	v_dual_add_nc_u32 v8, v1, v4 :: v_dual_bitop2_b32 v12, 32, v11 bitop3:0x54
	v_subrev_nc_u32_e32 v5, s3, v5
	v_mov_b32_e32 v18, 1
	s_wait_xcnt 0x0
	s_mov_b32 s1, 0
	v_cmp_gt_i32_e32 vcc_lo, 32, v12
	v_xor_b32_e32 v1, 16, v11
	s_mov_b32 s12, 0
	v_dual_mov_b32 v17, 0 :: v_dual_cndmask_b32 v10, v11, v12
	s_delay_alu instid0(VALU_DEP_2) | instskip(NEXT) | instid1(VALU_DEP_2)
	v_cmp_gt_i32_e32 vcc_lo, 32, v1
	v_dual_lshlrev_b32 v10, 2, v10 :: v_dual_bitop2_b32 v12, 8, v11 bitop3:0x14
	v_dual_cndmask_b32 v1, v11, v1, vcc_lo :: v_dual_add_nc_u32 v9, v9, v4
	v_add_nc_u32_e32 v16, v6, v4
	s_delay_alu instid0(VALU_DEP_3) | instskip(SKIP_1) | instid1(VALU_DEP_1)
	v_cmp_gt_i32_e32 vcc_lo, 32, v12
	v_dual_cndmask_b32 v12, v11, v12, vcc_lo :: v_dual_bitop2_b32 v13, 4, v11 bitop3:0x14
	v_cmp_gt_i32_e32 vcc_lo, 32, v13
	v_dual_cndmask_b32 v13, v11, v13, vcc_lo :: v_dual_bitop2_b32 v14, 2, v11 bitop3:0x14
	s_delay_alu instid0(VALU_DEP_1) | instskip(NEXT) | instid1(VALU_DEP_4)
	v_cmp_gt_i32_e32 vcc_lo, 32, v14
	v_dual_lshlrev_b32 v12, 2, v12 :: v_dual_bitop2_b32 v15, 1, v11 bitop3:0x14
	s_delay_alu instid0(VALU_DEP_3) | instskip(NEXT) | instid1(VALU_DEP_2)
	v_dual_cndmask_b32 v14, v11, v14 :: v_dual_lshlrev_b32 v13, 2, v13
	v_cmp_gt_i32_e32 vcc_lo, 32, v15
	v_dual_cndmask_b32 v15, v11, v15, vcc_lo :: v_dual_lshlrev_b32 v11, 2, v1
	s_delay_alu instid0(VALU_DEP_1)
	v_dual_lshlrev_b32 v14, 2, v14 :: v_dual_lshlrev_b32 v15, 2, v15
	s_branch .LBB2_10
.LBB2_8:                                ;   in Loop: Header=BB2_10 Depth=1
	s_or_b32 exec_lo, exec_lo, s14
.LBB2_9:                                ;   in Loop: Header=BB2_10 Depth=1
	s_delay_alu instid0(SALU_CYCLE_1)
	s_or_b32 exec_lo, exec_lo, s13
	s_wait_dscnt 0x0
	ds_load_u8 v19, v16
	ds_bpermute_b32 v0, v10, v1
	s_wait_dscnt 0x1
	v_cmp_ne_u16_e32 vcc_lo, 0, v19
	s_bcnt1_i32_b32 s13, vcc_lo
	s_delay_alu instid0(SALU_CYCLE_1)
	s_add_co_i32 s12, s13, s12
	s_wait_dscnt 0x0
	v_min_i32_e32 v0, v0, v1
	ds_bpermute_b32 v1, v11, v0
	s_wait_dscnt 0x0
	v_min_i32_e32 v0, v1, v0
	ds_bpermute_b32 v1, v12, v0
	;; [unrolled: 3-line block ×5, first 2 shown]
	s_wait_dscnt 0x0
	v_min_i32_e32 v0, v1, v0
	s_delay_alu instid0(VALU_DEP_1) | instskip(NEXT) | instid1(VALU_DEP_1)
	v_ashrrev_i32_e32 v1, 31, v0
	v_cmp_le_i64_e64 s0, s[6:7], v[0:1]
	v_mov_b32_e32 v1, s12
	s_or_b32 s1, s0, s1
	s_delay_alu instid0(SALU_CYCLE_1)
	s_and_not1_b32 exec_lo, exec_lo, s1
	s_cbranch_execz .LBB2_29
.LBB2_10:                               ; =>This Loop Header: Depth=1
                                        ;     Child Loop BB2_13 Depth 2
                                        ;     Child Loop BB2_23 Depth 2
	v_mov_b32_e32 v1, v3
	s_mov_b32 s13, exec_lo
	ds_store_b8 v16, v17
	s_wait_dscnt 0x0
	v_cmpx_lt_i32_e64 v8, v7
	s_cbranch_execz .LBB2_20
; %bb.11:                               ;   in Loop: Header=BB2_10 Depth=1
	v_mov_b32_e32 v1, v3
	s_mov_b32 s14, 0
	s_branch .LBB2_13
.LBB2_12:                               ;   in Loop: Header=BB2_13 Depth=2
	s_or_b32 exec_lo, exec_lo, s15
	s_delay_alu instid0(SALU_CYCLE_1) | instskip(NEXT) | instid1(SALU_CYCLE_1)
	s_and_b32 s0, exec_lo, s0
	s_or_b32 s14, s0, s14
	s_delay_alu instid0(SALU_CYCLE_1)
	s_and_not1_b32 exec_lo, exec_lo, s14
	s_cbranch_execz .LBB2_19
.LBB2_13:                               ;   Parent Loop BB2_10 Depth=1
                                        ; =>  This Inner Loop Header: Depth=2
	global_load_b32 v19, v8, s[10:11] scale_offset
	s_wait_loadcnt 0x0
	v_subrev_nc_u32_e32 v20, s2, v19
	s_delay_alu instid0(VALU_DEP_1) | instskip(NEXT) | instid1(VALU_DEP_1)
	v_sub_nc_u32_e32 v19, v20, v0
	v_cmp_lt_u32_e64 s0, 63, v19
	v_cmp_gt_u32_e32 vcc_lo, 64, v19
	s_wait_xcnt 0x0
	s_and_saveexec_b32 s15, s0
	s_delay_alu instid0(SALU_CYCLE_1)
	s_xor_b32 s0, exec_lo, s15
	s_cbranch_execnz .LBB2_16
; %bb.14:                               ;   in Loop: Header=BB2_13 Depth=2
	s_and_not1_saveexec_b32 s0, s0
	s_cbranch_execnz .LBB2_17
.LBB2_15:                               ;   in Loop: Header=BB2_13 Depth=2
	s_or_b32 exec_lo, exec_lo, s0
	s_mov_b32 s0, -1
	s_and_saveexec_b32 s15, vcc_lo
	s_cbranch_execz .LBB2_12
	s_branch .LBB2_18
.LBB2_16:                               ;   in Loop: Header=BB2_13 Depth=2
	v_min_i32_e32 v1, v20, v1
                                        ; implicit-def: $vgpr19
	s_and_not1_saveexec_b32 s0, s0
	s_cbranch_execz .LBB2_15
.LBB2_17:                               ;   in Loop: Header=BB2_13 Depth=2
	v_add_nc_u32_e32 v19, v6, v19
	ds_store_b8 v19, v18
	s_or_b32 exec_lo, exec_lo, s0
	s_mov_b32 s0, -1
	s_and_saveexec_b32 s15, vcc_lo
	s_cbranch_execz .LBB2_12
.LBB2_18:                               ;   in Loop: Header=BB2_13 Depth=2
	v_add_nc_u32_e32 v8, 64, v8
	s_delay_alu instid0(VALU_DEP_1)
	v_cmp_ge_i32_e32 vcc_lo, v8, v7
	s_or_not1_b32 s0, vcc_lo, exec_lo
	s_branch .LBB2_12
.LBB2_19:                               ;   in Loop: Header=BB2_10 Depth=1
	s_or_b32 exec_lo, exec_lo, s14
.LBB2_20:                               ;   in Loop: Header=BB2_10 Depth=1
	s_delay_alu instid0(SALU_CYCLE_1) | instskip(NEXT) | instid1(SALU_CYCLE_1)
	s_or_b32 exec_lo, exec_lo, s13
	s_mov_b32 s13, exec_lo
	v_cmpx_lt_i32_e64 v9, v5
	s_cbranch_execz .LBB2_9
; %bb.21:                               ;   in Loop: Header=BB2_10 Depth=1
	s_mov_b32 s14, 0
	s_branch .LBB2_23
.LBB2_22:                               ;   in Loop: Header=BB2_23 Depth=2
	s_or_b32 exec_lo, exec_lo, s15
	s_delay_alu instid0(SALU_CYCLE_1) | instskip(NEXT) | instid1(SALU_CYCLE_1)
	s_and_b32 s0, exec_lo, s0
	s_or_b32 s14, s0, s14
	s_delay_alu instid0(SALU_CYCLE_1)
	s_and_not1_b32 exec_lo, exec_lo, s14
	s_cbranch_execz .LBB2_8
.LBB2_23:                               ;   Parent Loop BB2_10 Depth=1
                                        ; =>  This Inner Loop Header: Depth=2
	s_wait_kmcnt 0x0
	global_load_b32 v19, v9, s[4:5] scale_offset
	s_wait_loadcnt 0x0
	v_subrev_nc_u32_e32 v20, s3, v19
	s_delay_alu instid0(VALU_DEP_1) | instskip(NEXT) | instid1(VALU_DEP_1)
	v_sub_nc_u32_e32 v19, v20, v0
	v_cmp_lt_u32_e64 s0, 63, v19
	v_cmp_gt_u32_e32 vcc_lo, 64, v19
	s_and_saveexec_b32 s15, s0
	s_delay_alu instid0(SALU_CYCLE_1)
	s_xor_b32 s0, exec_lo, s15
	s_cbranch_execnz .LBB2_26
; %bb.24:                               ;   in Loop: Header=BB2_23 Depth=2
	s_and_not1_saveexec_b32 s0, s0
	s_cbranch_execnz .LBB2_27
.LBB2_25:                               ;   in Loop: Header=BB2_23 Depth=2
	s_or_b32 exec_lo, exec_lo, s0
	s_mov_b32 s0, -1
	s_and_saveexec_b32 s15, vcc_lo
	s_cbranch_execz .LBB2_22
	s_branch .LBB2_28
.LBB2_26:                               ;   in Loop: Header=BB2_23 Depth=2
	v_min_i32_e32 v1, v20, v1
                                        ; implicit-def: $vgpr19
	s_and_not1_saveexec_b32 s0, s0
	s_cbranch_execz .LBB2_25
.LBB2_27:                               ;   in Loop: Header=BB2_23 Depth=2
	v_add_nc_u32_e32 v19, v6, v19
	ds_store_b8 v19, v18
	s_or_b32 exec_lo, exec_lo, s0
	s_mov_b32 s0, -1
	s_and_saveexec_b32 s15, vcc_lo
	s_cbranch_execz .LBB2_22
.LBB2_28:                               ;   in Loop: Header=BB2_23 Depth=2
	v_add_nc_u32_e32 v9, 64, v9
	s_delay_alu instid0(VALU_DEP_1)
	v_cmp_ge_i32_e32 vcc_lo, v9, v5
	s_or_not1_b32 s0, vcc_lo, exec_lo
	s_branch .LBB2_22
.LBB2_29:
	s_or_b32 exec_lo, exec_lo, s1
	v_cmp_eq_u32_e32 vcc_lo, 63, v4
	s_and_b32 exec_lo, exec_lo, vcc_lo
	s_cbranch_execz .LBB2_31
; %bb.30:
	s_wait_kmcnt 0x0
	global_store_b32 v2, v1, s[8:9] scale_offset
.LBB2_31:
	s_endpgm
	.section	.rodata,"a",@progbits
	.p2align	6, 0x0
	.amdhsa_kernel _ZN9rocsparseL28csrgeam_nnz_multipass_deviceILj256ELj64EiiiEEvllPKT1_PKT2_S3_S6_PT3_21rocsparse_index_base_S9_
		.amdhsa_group_segment_fixed_size 256
		.amdhsa_private_segment_fixed_size 0
		.amdhsa_kernarg_size 64
		.amdhsa_user_sgpr_count 2
		.amdhsa_user_sgpr_dispatch_ptr 0
		.amdhsa_user_sgpr_queue_ptr 0
		.amdhsa_user_sgpr_kernarg_segment_ptr 1
		.amdhsa_user_sgpr_dispatch_id 0
		.amdhsa_user_sgpr_kernarg_preload_length 0
		.amdhsa_user_sgpr_kernarg_preload_offset 0
		.amdhsa_user_sgpr_private_segment_size 0
		.amdhsa_wavefront_size32 1
		.amdhsa_uses_dynamic_stack 0
		.amdhsa_enable_private_segment 0
		.amdhsa_system_sgpr_workgroup_id_x 1
		.amdhsa_system_sgpr_workgroup_id_y 0
		.amdhsa_system_sgpr_workgroup_id_z 0
		.amdhsa_system_sgpr_workgroup_info 0
		.amdhsa_system_vgpr_workitem_id 0
		.amdhsa_next_free_vgpr 21
		.amdhsa_next_free_sgpr 16
		.amdhsa_named_barrier_count 0
		.amdhsa_reserve_vcc 1
		.amdhsa_float_round_mode_32 0
		.amdhsa_float_round_mode_16_64 0
		.amdhsa_float_denorm_mode_32 3
		.amdhsa_float_denorm_mode_16_64 3
		.amdhsa_fp16_overflow 0
		.amdhsa_memory_ordered 1
		.amdhsa_forward_progress 1
		.amdhsa_inst_pref_size 10
		.amdhsa_round_robin_scheduling 0
		.amdhsa_exception_fp_ieee_invalid_op 0
		.amdhsa_exception_fp_denorm_src 0
		.amdhsa_exception_fp_ieee_div_zero 0
		.amdhsa_exception_fp_ieee_overflow 0
		.amdhsa_exception_fp_ieee_underflow 0
		.amdhsa_exception_fp_ieee_inexact 0
		.amdhsa_exception_int_div_zero 0
	.end_amdhsa_kernel
	.section	.text._ZN9rocsparseL28csrgeam_nnz_multipass_deviceILj256ELj64EiiiEEvllPKT1_PKT2_S3_S6_PT3_21rocsparse_index_base_S9_,"axG",@progbits,_ZN9rocsparseL28csrgeam_nnz_multipass_deviceILj256ELj64EiiiEEvllPKT1_PKT2_S3_S6_PT3_21rocsparse_index_base_S9_,comdat
.Lfunc_end2:
	.size	_ZN9rocsparseL28csrgeam_nnz_multipass_deviceILj256ELj64EiiiEEvllPKT1_PKT2_S3_S6_PT3_21rocsparse_index_base_S9_, .Lfunc_end2-_ZN9rocsparseL28csrgeam_nnz_multipass_deviceILj256ELj64EiiiEEvllPKT1_PKT2_S3_S6_PT3_21rocsparse_index_base_S9_
                                        ; -- End function
	.set _ZN9rocsparseL28csrgeam_nnz_multipass_deviceILj256ELj64EiiiEEvllPKT1_PKT2_S3_S6_PT3_21rocsparse_index_base_S9_.num_vgpr, 21
	.set _ZN9rocsparseL28csrgeam_nnz_multipass_deviceILj256ELj64EiiiEEvllPKT1_PKT2_S3_S6_PT3_21rocsparse_index_base_S9_.num_agpr, 0
	.set _ZN9rocsparseL28csrgeam_nnz_multipass_deviceILj256ELj64EiiiEEvllPKT1_PKT2_S3_S6_PT3_21rocsparse_index_base_S9_.numbered_sgpr, 16
	.set _ZN9rocsparseL28csrgeam_nnz_multipass_deviceILj256ELj64EiiiEEvllPKT1_PKT2_S3_S6_PT3_21rocsparse_index_base_S9_.num_named_barrier, 0
	.set _ZN9rocsparseL28csrgeam_nnz_multipass_deviceILj256ELj64EiiiEEvllPKT1_PKT2_S3_S6_PT3_21rocsparse_index_base_S9_.private_seg_size, 0
	.set _ZN9rocsparseL28csrgeam_nnz_multipass_deviceILj256ELj64EiiiEEvllPKT1_PKT2_S3_S6_PT3_21rocsparse_index_base_S9_.uses_vcc, 1
	.set _ZN9rocsparseL28csrgeam_nnz_multipass_deviceILj256ELj64EiiiEEvllPKT1_PKT2_S3_S6_PT3_21rocsparse_index_base_S9_.uses_flat_scratch, 0
	.set _ZN9rocsparseL28csrgeam_nnz_multipass_deviceILj256ELj64EiiiEEvllPKT1_PKT2_S3_S6_PT3_21rocsparse_index_base_S9_.has_dyn_sized_stack, 0
	.set _ZN9rocsparseL28csrgeam_nnz_multipass_deviceILj256ELj64EiiiEEvllPKT1_PKT2_S3_S6_PT3_21rocsparse_index_base_S9_.has_recursion, 0
	.set _ZN9rocsparseL28csrgeam_nnz_multipass_deviceILj256ELj64EiiiEEvllPKT1_PKT2_S3_S6_PT3_21rocsparse_index_base_S9_.has_indirect_call, 0
	.section	.AMDGPU.csdata,"",@progbits
; Kernel info:
; codeLenInByte = 1200
; TotalNumSgprs: 18
; NumVgprs: 21
; ScratchSize: 0
; MemoryBound: 0
; FloatMode: 240
; IeeeMode: 1
; LDSByteSize: 256 bytes/workgroup (compile time only)
; SGPRBlocks: 0
; VGPRBlocks: 1
; NumSGPRsForWavesPerEU: 18
; NumVGPRsForWavesPerEU: 21
; NamedBarCnt: 0
; Occupancy: 16
; WaveLimiterHint : 1
; COMPUTE_PGM_RSRC2:SCRATCH_EN: 0
; COMPUTE_PGM_RSRC2:USER_SGPR: 2
; COMPUTE_PGM_RSRC2:TRAP_HANDLER: 0
; COMPUTE_PGM_RSRC2:TGID_X_EN: 1
; COMPUTE_PGM_RSRC2:TGID_Y_EN: 0
; COMPUTE_PGM_RSRC2:TGID_Z_EN: 0
; COMPUTE_PGM_RSRC2:TIDIG_COMP_CNT: 0
	.section	.text._ZN9rocsparseL28csrgeam_nnz_multipass_deviceILj256ELj64EiilEEvllPKT1_PKT2_S3_S6_PT3_21rocsparse_index_base_S9_,"axG",@progbits,_ZN9rocsparseL28csrgeam_nnz_multipass_deviceILj256ELj64EiilEEvllPKT1_PKT2_S3_S6_PT3_21rocsparse_index_base_S9_,comdat
	.globl	_ZN9rocsparseL28csrgeam_nnz_multipass_deviceILj256ELj64EiilEEvllPKT1_PKT2_S3_S6_PT3_21rocsparse_index_base_S9_ ; -- Begin function _ZN9rocsparseL28csrgeam_nnz_multipass_deviceILj256ELj64EiilEEvllPKT1_PKT2_S3_S6_PT3_21rocsparse_index_base_S9_
	.p2align	8
	.type	_ZN9rocsparseL28csrgeam_nnz_multipass_deviceILj256ELj64EiilEEvllPKT1_PKT2_S3_S6_PT3_21rocsparse_index_base_S9_,@function
_ZN9rocsparseL28csrgeam_nnz_multipass_deviceILj256ELj64EiilEEvllPKT1_PKT2_S3_S6_PT3_21rocsparse_index_base_S9_: ; @_ZN9rocsparseL28csrgeam_nnz_multipass_deviceILj256ELj64EiilEEvllPKT1_PKT2_S3_S6_PT3_21rocsparse_index_base_S9_
; %bb.0:
	s_load_b128 s[4:7], s[0:1], 0x0
	s_bfe_u32 s2, ttmp6, 0x4000c
	s_and_b32 s3, ttmp6, 15
	s_add_co_i32 s2, s2, 1
	s_getreg_b32 s8, hwreg(HW_REG_IB_STS2, 6, 4)
	s_mul_i32 s2, ttmp9, s2
	v_dual_lshrrev_b32 v1, 6, v0 :: v_dual_mov_b32 v3, 0
	s_add_co_i32 s3, s3, s2
	s_cmp_eq_u32 s8, 0
	s_cselect_b32 s2, ttmp9, s3
	s_delay_alu instid0(SALU_CYCLE_1) | instskip(NEXT) | instid1(SALU_CYCLE_1)
	s_lshl_b32 s2, s2, 2
	v_and_or_b32 v2, 0x3fffffc, s2, v1
	s_mov_b32 s2, exec_lo
	s_wait_kmcnt 0x0
	s_delay_alu instid0(VALU_DEP_1)
	v_cmpx_gt_i64_e64 s[4:5], v[2:3]
	s_cbranch_execz .LBB3_31
; %bb.1:
	s_clause 0x1
	s_load_b128 s[8:11], s[0:1], 0x10
	s_load_b64 s[2:3], s[0:1], 0x20
	v_lshlrev_b32_e32 v1, 2, v2
	s_mov_b32 s4, exec_lo
	s_wait_kmcnt 0x0
	s_clause 0x1
	global_load_b64 v[6:7], v1, s[8:9]
	global_load_b64 v[4:5], v1, s[2:3]
	s_wait_xcnt 0x0
	s_load_b64 s[2:3], s[0:1], 0x38
	s_wait_loadcnt 0x1
	v_cmpx_ge_i32_e64 v6, v7
	s_xor_b32 s4, exec_lo, s4
	s_delay_alu instid0(SALU_CYCLE_1)
	s_or_saveexec_b32 s4, s4
	s_wait_kmcnt 0x0
	v_subrev_nc_u32_e32 v1, s2, v6
	v_mov_b32_e32 v10, s6
	s_xor_b32 exec_lo, exec_lo, s4
	s_cbranch_execz .LBB3_3
; %bb.2:
	global_load_b32 v3, v1, s[10:11] scale_offset
	s_wait_loadcnt 0x0
	v_subrev_nc_u32_e32 v10, s2, v3
.LBB3_3:
	s_or_b32 exec_lo, exec_lo, s4
	s_load_b64 s[4:5], s[0:1], 0x28
	v_mov_b32_e32 v3, s6
	s_mov_b32 s8, exec_lo
	s_wait_loadcnt 0x0
	v_cmpx_ge_i32_e64 v4, v5
	s_xor_b32 s8, exec_lo, s8
; %bb.4:
	v_mov_b32_e32 v3, s6
; %bb.5:
	s_or_saveexec_b32 s12, s8
	s_load_b64 s[8:9], s[0:1], 0x30
	v_subrev_nc_u32_e32 v4, s3, v4
	s_delay_alu instid0(VALU_DEP_2)
	v_mov_b32_e32 v11, v3
	s_xor_b32 exec_lo, exec_lo, s12
	s_cbranch_execz .LBB3_7
; %bb.6:
	s_wait_kmcnt 0x0
	global_load_b32 v6, v4, s[4:5] scale_offset
	s_wait_loadcnt 0x0
	v_subrev_nc_u32_e32 v11, s3, v6
.LBB3_7:
	s_or_b32 exec_lo, exec_lo, s12
	v_mbcnt_lo_u32_b32 v13, -1, 0
	v_and_b32_e32 v6, 63, v0
	v_and_b32_e32 v8, 0xc0, v0
	v_subrev_nc_u32_e32 v9, s3, v5
	v_subrev_nc_u32_e32 v7, s2, v7
	v_or_b32_e32 v12, 32, v13
	v_min_i32_e32 v0, v11, v10
	v_dual_add_nc_u32 v10, v1, v6 :: v_dual_bitop2_b32 v1, 16, v13 bitop3:0x14
	v_xor_b32_e32 v14, 2, v13
	s_delay_alu instid0(VALU_DEP_4)
	v_cmp_gt_i32_e32 vcc_lo, 32, v12
	s_mov_b32 s13, 0
	s_mov_b64 s[14:15], 0
	s_wait_xcnt 0x0
	s_mov_b32 s1, 0
	v_dual_mov_b32 v19, 0 :: v_dual_cndmask_b32 v5, v13, v12, vcc_lo
	v_cmp_gt_i32_e32 vcc_lo, 32, v1
	v_dual_mov_b32 v20, 1 :: v_dual_cndmask_b32 v1, v13, v1
	v_dual_add_nc_u32 v11, v4, v6 :: v_dual_bitop2_b32 v4, 8, v13 bitop3:0x14
	v_add_nc_u32_e32 v18, v8, v6
	s_delay_alu instid0(VALU_DEP_2) | instskip(SKIP_3) | instid1(VALU_DEP_1)
	v_cmp_gt_i32_e32 vcc_lo, 32, v4
	v_dual_lshlrev_b32 v12, 2, v5 :: v_dual_cndmask_b32 v4, v13, v4, vcc_lo
	v_xor_b32_e32 v15, 1, v13
	v_xor_b32_e32 v5, 4, v13
	v_cmp_gt_i32_e32 vcc_lo, 32, v5
	v_cndmask_b32_e32 v5, v13, v5, vcc_lo
	v_cmp_gt_i32_e32 vcc_lo, 32, v14
	v_dual_cndmask_b32 v16, v13, v14, vcc_lo :: v_dual_lshlrev_b32 v14, 2, v4
	v_cmp_gt_i32_e32 vcc_lo, 32, v15
	s_delay_alu instid0(VALU_DEP_2) | instskip(SKIP_2) | instid1(VALU_DEP_3)
	v_dual_cndmask_b32 v17, v13, v15 :: v_dual_lshlrev_b32 v16, 2, v16
	v_lshlrev_b32_e32 v13, 2, v1
	v_lshlrev_b32_e32 v15, 2, v5
	;; [unrolled: 1-line block ×3, first 2 shown]
	s_branch .LBB3_10
.LBB3_8:                                ;   in Loop: Header=BB3_10 Depth=1
	s_or_b32 exec_lo, exec_lo, s16
.LBB3_9:                                ;   in Loop: Header=BB3_10 Depth=1
	s_delay_alu instid0(SALU_CYCLE_1)
	s_or_b32 exec_lo, exec_lo, s12
	ds_bpermute_b32 v0, v12, v1
	s_wait_dscnt 0x0
	ds_load_u8 v4, v18
	v_min_i32_e32 v0, v0, v1
	s_wait_dscnt 0x0
	v_cmp_ne_u16_e32 vcc_lo, 0, v4
	ds_bpermute_b32 v1, v13, v0
	s_bcnt1_i32_b32 s12, vcc_lo
	s_delay_alu instid0(SALU_CYCLE_1) | instskip(NEXT) | instid1(SALU_CYCLE_1)
	s_add_nc_u64 s[14:15], s[14:15], s[12:13]
	v_mov_b64_e32 v[4:5], s[14:15]
	s_wait_dscnt 0x0
	v_min_i32_e32 v0, v1, v0
	ds_bpermute_b32 v1, v14, v0
	s_wait_dscnt 0x0
	v_min_i32_e32 v0, v1, v0
	ds_bpermute_b32 v1, v15, v0
	s_wait_dscnt 0x0
	v_min_i32_e32 v0, v1, v0
	ds_bpermute_b32 v1, v16, v0
	s_wait_dscnt 0x0
	v_min_i32_e32 v0, v1, v0
	ds_bpermute_b32 v1, v17, v0
	s_wait_dscnt 0x0
	v_min_i32_e32 v0, v1, v0
	s_delay_alu instid0(VALU_DEP_1) | instskip(NEXT) | instid1(VALU_DEP_1)
	v_ashrrev_i32_e32 v1, 31, v0
	v_cmp_le_i64_e64 s0, s[6:7], v[0:1]
	s_or_b32 s1, s0, s1
	s_delay_alu instid0(SALU_CYCLE_1)
	s_and_not1_b32 exec_lo, exec_lo, s1
	s_cbranch_execz .LBB3_29
.LBB3_10:                               ; =>This Loop Header: Depth=1
                                        ;     Child Loop BB3_13 Depth 2
                                        ;     Child Loop BB3_23 Depth 2
	v_mov_b32_e32 v1, v3
	s_mov_b32 s12, exec_lo
	ds_store_b8 v18, v19
	s_wait_dscnt 0x0
	v_cmpx_lt_i32_e64 v10, v7
	s_cbranch_execz .LBB3_20
; %bb.11:                               ;   in Loop: Header=BB3_10 Depth=1
	v_mov_b32_e32 v1, v3
	s_mov_b32 s16, 0
	s_branch .LBB3_13
.LBB3_12:                               ;   in Loop: Header=BB3_13 Depth=2
	s_or_b32 exec_lo, exec_lo, s17
	s_delay_alu instid0(SALU_CYCLE_1) | instskip(NEXT) | instid1(SALU_CYCLE_1)
	s_and_b32 s0, exec_lo, s0
	s_or_b32 s16, s0, s16
	s_delay_alu instid0(SALU_CYCLE_1)
	s_and_not1_b32 exec_lo, exec_lo, s16
	s_cbranch_execz .LBB3_19
.LBB3_13:                               ;   Parent Loop BB3_10 Depth=1
                                        ; =>  This Inner Loop Header: Depth=2
	global_load_b32 v4, v10, s[10:11] scale_offset
	s_wait_loadcnt 0x0
	v_subrev_nc_u32_e32 v5, s2, v4
	s_delay_alu instid0(VALU_DEP_1) | instskip(NEXT) | instid1(VALU_DEP_1)
	v_sub_nc_u32_e32 v4, v5, v0
	v_cmp_lt_u32_e64 s0, 63, v4
	v_cmp_gt_u32_e32 vcc_lo, 64, v4
	s_wait_xcnt 0x0
	s_and_saveexec_b32 s17, s0
	s_delay_alu instid0(SALU_CYCLE_1)
	s_xor_b32 s0, exec_lo, s17
	s_cbranch_execnz .LBB3_16
; %bb.14:                               ;   in Loop: Header=BB3_13 Depth=2
	s_and_not1_saveexec_b32 s0, s0
	s_cbranch_execnz .LBB3_17
.LBB3_15:                               ;   in Loop: Header=BB3_13 Depth=2
	s_or_b32 exec_lo, exec_lo, s0
	s_mov_b32 s0, -1
	s_and_saveexec_b32 s17, vcc_lo
	s_cbranch_execz .LBB3_12
	s_branch .LBB3_18
.LBB3_16:                               ;   in Loop: Header=BB3_13 Depth=2
	v_min_i32_e32 v1, v5, v1
                                        ; implicit-def: $vgpr4
	s_and_not1_saveexec_b32 s0, s0
	s_cbranch_execz .LBB3_15
.LBB3_17:                               ;   in Loop: Header=BB3_13 Depth=2
	v_add_nc_u32_e32 v4, v8, v4
	ds_store_b8 v4, v20
	s_or_b32 exec_lo, exec_lo, s0
	s_mov_b32 s0, -1
	s_and_saveexec_b32 s17, vcc_lo
	s_cbranch_execz .LBB3_12
.LBB3_18:                               ;   in Loop: Header=BB3_13 Depth=2
	v_add_nc_u32_e32 v10, 64, v10
	s_delay_alu instid0(VALU_DEP_1)
	v_cmp_ge_i32_e32 vcc_lo, v10, v7
	s_or_not1_b32 s0, vcc_lo, exec_lo
	s_branch .LBB3_12
.LBB3_19:                               ;   in Loop: Header=BB3_10 Depth=1
	s_or_b32 exec_lo, exec_lo, s16
.LBB3_20:                               ;   in Loop: Header=BB3_10 Depth=1
	s_delay_alu instid0(SALU_CYCLE_1) | instskip(NEXT) | instid1(SALU_CYCLE_1)
	s_or_b32 exec_lo, exec_lo, s12
	s_mov_b32 s12, exec_lo
	v_cmpx_lt_i32_e64 v11, v9
	s_cbranch_execz .LBB3_9
; %bb.21:                               ;   in Loop: Header=BB3_10 Depth=1
	s_mov_b32 s16, 0
	s_branch .LBB3_23
.LBB3_22:                               ;   in Loop: Header=BB3_23 Depth=2
	s_or_b32 exec_lo, exec_lo, s17
	s_delay_alu instid0(SALU_CYCLE_1) | instskip(NEXT) | instid1(SALU_CYCLE_1)
	s_and_b32 s0, exec_lo, s0
	s_or_b32 s16, s0, s16
	s_delay_alu instid0(SALU_CYCLE_1)
	s_and_not1_b32 exec_lo, exec_lo, s16
	s_cbranch_execz .LBB3_8
.LBB3_23:                               ;   Parent Loop BB3_10 Depth=1
                                        ; =>  This Inner Loop Header: Depth=2
	s_wait_kmcnt 0x0
	global_load_b32 v4, v11, s[4:5] scale_offset
	s_wait_loadcnt 0x0
	v_subrev_nc_u32_e32 v5, s3, v4
	s_delay_alu instid0(VALU_DEP_1) | instskip(NEXT) | instid1(VALU_DEP_1)
	v_sub_nc_u32_e32 v4, v5, v0
	v_cmp_lt_u32_e64 s0, 63, v4
	v_cmp_gt_u32_e32 vcc_lo, 64, v4
	s_and_saveexec_b32 s17, s0
	s_delay_alu instid0(SALU_CYCLE_1)
	s_xor_b32 s0, exec_lo, s17
	s_cbranch_execnz .LBB3_26
; %bb.24:                               ;   in Loop: Header=BB3_23 Depth=2
	s_and_not1_saveexec_b32 s0, s0
	s_cbranch_execnz .LBB3_27
.LBB3_25:                               ;   in Loop: Header=BB3_23 Depth=2
	s_or_b32 exec_lo, exec_lo, s0
	s_mov_b32 s0, -1
	s_and_saveexec_b32 s17, vcc_lo
	s_cbranch_execz .LBB3_22
	s_branch .LBB3_28
.LBB3_26:                               ;   in Loop: Header=BB3_23 Depth=2
	v_min_i32_e32 v1, v5, v1
                                        ; implicit-def: $vgpr4
	s_and_not1_saveexec_b32 s0, s0
	s_cbranch_execz .LBB3_25
.LBB3_27:                               ;   in Loop: Header=BB3_23 Depth=2
	v_add_nc_u32_e32 v4, v8, v4
	ds_store_b8 v4, v20
	s_or_b32 exec_lo, exec_lo, s0
	s_mov_b32 s0, -1
	s_and_saveexec_b32 s17, vcc_lo
	s_cbranch_execz .LBB3_22
.LBB3_28:                               ;   in Loop: Header=BB3_23 Depth=2
	v_add_nc_u32_e32 v11, 64, v11
	s_delay_alu instid0(VALU_DEP_1)
	v_cmp_ge_i32_e32 vcc_lo, v11, v9
	s_or_not1_b32 s0, vcc_lo, exec_lo
	s_branch .LBB3_22
.LBB3_29:
	s_or_b32 exec_lo, exec_lo, s1
	v_cmp_eq_u32_e32 vcc_lo, 63, v6
	s_and_b32 exec_lo, exec_lo, vcc_lo
	s_cbranch_execz .LBB3_31
; %bb.30:
	s_wait_kmcnt 0x0
	global_store_b64 v2, v[4:5], s[8:9] scale_offset
.LBB3_31:
	s_endpgm
	.section	.rodata,"a",@progbits
	.p2align	6, 0x0
	.amdhsa_kernel _ZN9rocsparseL28csrgeam_nnz_multipass_deviceILj256ELj64EiilEEvllPKT1_PKT2_S3_S6_PT3_21rocsparse_index_base_S9_
		.amdhsa_group_segment_fixed_size 256
		.amdhsa_private_segment_fixed_size 0
		.amdhsa_kernarg_size 64
		.amdhsa_user_sgpr_count 2
		.amdhsa_user_sgpr_dispatch_ptr 0
		.amdhsa_user_sgpr_queue_ptr 0
		.amdhsa_user_sgpr_kernarg_segment_ptr 1
		.amdhsa_user_sgpr_dispatch_id 0
		.amdhsa_user_sgpr_kernarg_preload_length 0
		.amdhsa_user_sgpr_kernarg_preload_offset 0
		.amdhsa_user_sgpr_private_segment_size 0
		.amdhsa_wavefront_size32 1
		.amdhsa_uses_dynamic_stack 0
		.amdhsa_enable_private_segment 0
		.amdhsa_system_sgpr_workgroup_id_x 1
		.amdhsa_system_sgpr_workgroup_id_y 0
		.amdhsa_system_sgpr_workgroup_id_z 0
		.amdhsa_system_sgpr_workgroup_info 0
		.amdhsa_system_vgpr_workitem_id 0
		.amdhsa_next_free_vgpr 21
		.amdhsa_next_free_sgpr 18
		.amdhsa_named_barrier_count 0
		.amdhsa_reserve_vcc 1
		.amdhsa_float_round_mode_32 0
		.amdhsa_float_round_mode_16_64 0
		.amdhsa_float_denorm_mode_32 3
		.amdhsa_float_denorm_mode_16_64 3
		.amdhsa_fp16_overflow 0
		.amdhsa_memory_ordered 1
		.amdhsa_forward_progress 1
		.amdhsa_inst_pref_size 10
		.amdhsa_round_robin_scheduling 0
		.amdhsa_exception_fp_ieee_invalid_op 0
		.amdhsa_exception_fp_denorm_src 0
		.amdhsa_exception_fp_ieee_div_zero 0
		.amdhsa_exception_fp_ieee_overflow 0
		.amdhsa_exception_fp_ieee_underflow 0
		.amdhsa_exception_fp_ieee_inexact 0
		.amdhsa_exception_int_div_zero 0
	.end_amdhsa_kernel
	.section	.text._ZN9rocsparseL28csrgeam_nnz_multipass_deviceILj256ELj64EiilEEvllPKT1_PKT2_S3_S6_PT3_21rocsparse_index_base_S9_,"axG",@progbits,_ZN9rocsparseL28csrgeam_nnz_multipass_deviceILj256ELj64EiilEEvllPKT1_PKT2_S3_S6_PT3_21rocsparse_index_base_S9_,comdat
.Lfunc_end3:
	.size	_ZN9rocsparseL28csrgeam_nnz_multipass_deviceILj256ELj64EiilEEvllPKT1_PKT2_S3_S6_PT3_21rocsparse_index_base_S9_, .Lfunc_end3-_ZN9rocsparseL28csrgeam_nnz_multipass_deviceILj256ELj64EiilEEvllPKT1_PKT2_S3_S6_PT3_21rocsparse_index_base_S9_
                                        ; -- End function
	.set _ZN9rocsparseL28csrgeam_nnz_multipass_deviceILj256ELj64EiilEEvllPKT1_PKT2_S3_S6_PT3_21rocsparse_index_base_S9_.num_vgpr, 21
	.set _ZN9rocsparseL28csrgeam_nnz_multipass_deviceILj256ELj64EiilEEvllPKT1_PKT2_S3_S6_PT3_21rocsparse_index_base_S9_.num_agpr, 0
	.set _ZN9rocsparseL28csrgeam_nnz_multipass_deviceILj256ELj64EiilEEvllPKT1_PKT2_S3_S6_PT3_21rocsparse_index_base_S9_.numbered_sgpr, 18
	.set _ZN9rocsparseL28csrgeam_nnz_multipass_deviceILj256ELj64EiilEEvllPKT1_PKT2_S3_S6_PT3_21rocsparse_index_base_S9_.num_named_barrier, 0
	.set _ZN9rocsparseL28csrgeam_nnz_multipass_deviceILj256ELj64EiilEEvllPKT1_PKT2_S3_S6_PT3_21rocsparse_index_base_S9_.private_seg_size, 0
	.set _ZN9rocsparseL28csrgeam_nnz_multipass_deviceILj256ELj64EiilEEvllPKT1_PKT2_S3_S6_PT3_21rocsparse_index_base_S9_.uses_vcc, 1
	.set _ZN9rocsparseL28csrgeam_nnz_multipass_deviceILj256ELj64EiilEEvllPKT1_PKT2_S3_S6_PT3_21rocsparse_index_base_S9_.uses_flat_scratch, 0
	.set _ZN9rocsparseL28csrgeam_nnz_multipass_deviceILj256ELj64EiilEEvllPKT1_PKT2_S3_S6_PT3_21rocsparse_index_base_S9_.has_dyn_sized_stack, 0
	.set _ZN9rocsparseL28csrgeam_nnz_multipass_deviceILj256ELj64EiilEEvllPKT1_PKT2_S3_S6_PT3_21rocsparse_index_base_S9_.has_recursion, 0
	.set _ZN9rocsparseL28csrgeam_nnz_multipass_deviceILj256ELj64EiilEEvllPKT1_PKT2_S3_S6_PT3_21rocsparse_index_base_S9_.has_indirect_call, 0
	.section	.AMDGPU.csdata,"",@progbits
; Kernel info:
; codeLenInByte = 1176
; TotalNumSgprs: 20
; NumVgprs: 21
; ScratchSize: 0
; MemoryBound: 0
; FloatMode: 240
; IeeeMode: 1
; LDSByteSize: 256 bytes/workgroup (compile time only)
; SGPRBlocks: 0
; VGPRBlocks: 1
; NumSGPRsForWavesPerEU: 20
; NumVGPRsForWavesPerEU: 21
; NamedBarCnt: 0
; Occupancy: 16
; WaveLimiterHint : 1
; COMPUTE_PGM_RSRC2:SCRATCH_EN: 0
; COMPUTE_PGM_RSRC2:USER_SGPR: 2
; COMPUTE_PGM_RSRC2:TRAP_HANDLER: 0
; COMPUTE_PGM_RSRC2:TGID_X_EN: 1
; COMPUTE_PGM_RSRC2:TGID_Y_EN: 0
; COMPUTE_PGM_RSRC2:TGID_Z_EN: 0
; COMPUTE_PGM_RSRC2:TIDIG_COMP_CNT: 0
	.section	.text._ZN9rocsparseL21csrgeam_check_row_ptrILj256EilEEvT1_PT0_21rocsparse_index_base_,"axG",@progbits,_ZN9rocsparseL21csrgeam_check_row_ptrILj256EilEEvT1_PT0_21rocsparse_index_base_,comdat
	.globl	_ZN9rocsparseL21csrgeam_check_row_ptrILj256EilEEvT1_PT0_21rocsparse_index_base_ ; -- Begin function _ZN9rocsparseL21csrgeam_check_row_ptrILj256EilEEvT1_PT0_21rocsparse_index_base_
	.p2align	8
	.type	_ZN9rocsparseL21csrgeam_check_row_ptrILj256EilEEvT1_PT0_21rocsparse_index_base_,@function
_ZN9rocsparseL21csrgeam_check_row_ptrILj256EilEEvT1_PT0_21rocsparse_index_base_: ; @_ZN9rocsparseL21csrgeam_check_row_ptrILj256EilEEvT1_PT0_21rocsparse_index_base_
; %bb.0:
	s_load_b64 s[2:3], s[0:1], 0x0
	s_bfe_u32 s4, ttmp6, 0x4000c
	s_and_b32 s5, ttmp6, 15
	s_add_co_i32 s4, s4, 1
	s_getreg_b32 s6, hwreg(HW_REG_IB_STS2, 6, 4)
	s_mul_i32 s4, ttmp9, s4
	v_mov_b32_e32 v1, 0
	s_add_co_i32 s5, s5, s4
	s_cmp_eq_u32 s6, 0
	s_cselect_b32 s4, ttmp9, s5
	s_delay_alu instid0(SALU_CYCLE_1) | instskip(SKIP_2) | instid1(VALU_DEP_1)
	v_lshl_or_b32 v0, s4, 8, v0
	s_mov_b32 s4, exec_lo
	s_wait_kmcnt 0x0
	v_cmpx_ge_i64_e64 s[2:3], v[0:1]
	s_cbranch_execz .LBB4_3
; %bb.1:
	s_load_b96 s[4:6], s[0:1], 0x8
	s_wait_kmcnt 0x0
	v_lshl_add_u64 v[0:1], v[0:1], 2, s[4:5]
	global_load_b32 v0, v[0:1], off
	s_wait_loadcnt 0x0
	v_cmp_gt_i32_e32 vcc_lo, s6, v0
	s_and_b32 exec_lo, exec_lo, vcc_lo
	s_cbranch_execz .LBB4_3
; %bb.2:
	v_dual_mov_b32 v0, 0 :: v_dual_mov_b32 v1, -1
	s_lshl_b64 s[0:1], s[2:3], 2
	s_delay_alu instid0(SALU_CYCLE_1)
	s_add_nc_u64 s[0:1], s[4:5], s[0:1]
	global_store_b32 v0, v1, s[0:1]
.LBB4_3:
	s_endpgm
	.section	.rodata,"a",@progbits
	.p2align	6, 0x0
	.amdhsa_kernel _ZN9rocsparseL21csrgeam_check_row_ptrILj256EilEEvT1_PT0_21rocsparse_index_base_
		.amdhsa_group_segment_fixed_size 0
		.amdhsa_private_segment_fixed_size 0
		.amdhsa_kernarg_size 20
		.amdhsa_user_sgpr_count 2
		.amdhsa_user_sgpr_dispatch_ptr 0
		.amdhsa_user_sgpr_queue_ptr 0
		.amdhsa_user_sgpr_kernarg_segment_ptr 1
		.amdhsa_user_sgpr_dispatch_id 0
		.amdhsa_user_sgpr_kernarg_preload_length 0
		.amdhsa_user_sgpr_kernarg_preload_offset 0
		.amdhsa_user_sgpr_private_segment_size 0
		.amdhsa_wavefront_size32 1
		.amdhsa_uses_dynamic_stack 0
		.amdhsa_enable_private_segment 0
		.amdhsa_system_sgpr_workgroup_id_x 1
		.amdhsa_system_sgpr_workgroup_id_y 0
		.amdhsa_system_sgpr_workgroup_id_z 0
		.amdhsa_system_sgpr_workgroup_info 0
		.amdhsa_system_vgpr_workitem_id 0
		.amdhsa_next_free_vgpr 2
		.amdhsa_next_free_sgpr 7
		.amdhsa_named_barrier_count 0
		.amdhsa_reserve_vcc 1
		.amdhsa_float_round_mode_32 0
		.amdhsa_float_round_mode_16_64 0
		.amdhsa_float_denorm_mode_32 3
		.amdhsa_float_denorm_mode_16_64 3
		.amdhsa_fp16_overflow 0
		.amdhsa_memory_ordered 1
		.amdhsa_forward_progress 1
		.amdhsa_inst_pref_size 2
		.amdhsa_round_robin_scheduling 0
		.amdhsa_exception_fp_ieee_invalid_op 0
		.amdhsa_exception_fp_denorm_src 0
		.amdhsa_exception_fp_ieee_div_zero 0
		.amdhsa_exception_fp_ieee_overflow 0
		.amdhsa_exception_fp_ieee_underflow 0
		.amdhsa_exception_fp_ieee_inexact 0
		.amdhsa_exception_int_div_zero 0
	.end_amdhsa_kernel
	.section	.text._ZN9rocsparseL21csrgeam_check_row_ptrILj256EilEEvT1_PT0_21rocsparse_index_base_,"axG",@progbits,_ZN9rocsparseL21csrgeam_check_row_ptrILj256EilEEvT1_PT0_21rocsparse_index_base_,comdat
.Lfunc_end4:
	.size	_ZN9rocsparseL21csrgeam_check_row_ptrILj256EilEEvT1_PT0_21rocsparse_index_base_, .Lfunc_end4-_ZN9rocsparseL21csrgeam_check_row_ptrILj256EilEEvT1_PT0_21rocsparse_index_base_
                                        ; -- End function
	.set _ZN9rocsparseL21csrgeam_check_row_ptrILj256EilEEvT1_PT0_21rocsparse_index_base_.num_vgpr, 2
	.set _ZN9rocsparseL21csrgeam_check_row_ptrILj256EilEEvT1_PT0_21rocsparse_index_base_.num_agpr, 0
	.set _ZN9rocsparseL21csrgeam_check_row_ptrILj256EilEEvT1_PT0_21rocsparse_index_base_.numbered_sgpr, 7
	.set _ZN9rocsparseL21csrgeam_check_row_ptrILj256EilEEvT1_PT0_21rocsparse_index_base_.num_named_barrier, 0
	.set _ZN9rocsparseL21csrgeam_check_row_ptrILj256EilEEvT1_PT0_21rocsparse_index_base_.private_seg_size, 0
	.set _ZN9rocsparseL21csrgeam_check_row_ptrILj256EilEEvT1_PT0_21rocsparse_index_base_.uses_vcc, 1
	.set _ZN9rocsparseL21csrgeam_check_row_ptrILj256EilEEvT1_PT0_21rocsparse_index_base_.uses_flat_scratch, 0
	.set _ZN9rocsparseL21csrgeam_check_row_ptrILj256EilEEvT1_PT0_21rocsparse_index_base_.has_dyn_sized_stack, 0
	.set _ZN9rocsparseL21csrgeam_check_row_ptrILj256EilEEvT1_PT0_21rocsparse_index_base_.has_recursion, 0
	.set _ZN9rocsparseL21csrgeam_check_row_ptrILj256EilEEvT1_PT0_21rocsparse_index_base_.has_indirect_call, 0
	.section	.AMDGPU.csdata,"",@progbits
; Kernel info:
; codeLenInByte = 164
; TotalNumSgprs: 9
; NumVgprs: 2
; ScratchSize: 0
; MemoryBound: 0
; FloatMode: 240
; IeeeMode: 1
; LDSByteSize: 0 bytes/workgroup (compile time only)
; SGPRBlocks: 0
; VGPRBlocks: 0
; NumSGPRsForWavesPerEU: 9
; NumVGPRsForWavesPerEU: 2
; NamedBarCnt: 0
; Occupancy: 16
; WaveLimiterHint : 0
; COMPUTE_PGM_RSRC2:SCRATCH_EN: 0
; COMPUTE_PGM_RSRC2:USER_SGPR: 2
; COMPUTE_PGM_RSRC2:TRAP_HANDLER: 0
; COMPUTE_PGM_RSRC2:TGID_X_EN: 1
; COMPUTE_PGM_RSRC2:TGID_Y_EN: 0
; COMPUTE_PGM_RSRC2:TGID_Z_EN: 0
; COMPUTE_PGM_RSRC2:TIDIG_COMP_CNT: 0
	.section	.text._ZN9rocsparseL18csrgeam_index_baseILj1EiEEvPT0_,"axG",@progbits,_ZN9rocsparseL18csrgeam_index_baseILj1EiEEvPT0_,comdat
	.globl	_ZN9rocsparseL18csrgeam_index_baseILj1EiEEvPT0_ ; -- Begin function _ZN9rocsparseL18csrgeam_index_baseILj1EiEEvPT0_
	.p2align	8
	.type	_ZN9rocsparseL18csrgeam_index_baseILj1EiEEvPT0_,@function
_ZN9rocsparseL18csrgeam_index_baseILj1EiEEvPT0_: ; @_ZN9rocsparseL18csrgeam_index_baseILj1EiEEvPT0_
; %bb.0:
	s_load_b64 s[0:1], s[0:1], 0x0
	s_wait_kmcnt 0x0
	s_load_b32 s2, s[0:1], 0x0
	s_wait_kmcnt 0x0
	s_cmp_eq_u32 s2, -1
	s_cbranch_scc1 .LBB5_2
; %bb.1:
	s_add_co_i32 s2, s2, -1
	s_delay_alu instid0(SALU_CYCLE_1)
	v_dual_mov_b32 v0, 0 :: v_dual_mov_b32 v1, s2
	global_store_b32 v0, v1, s[0:1]
.LBB5_2:
	s_endpgm
	.section	.rodata,"a",@progbits
	.p2align	6, 0x0
	.amdhsa_kernel _ZN9rocsparseL18csrgeam_index_baseILj1EiEEvPT0_
		.amdhsa_group_segment_fixed_size 0
		.amdhsa_private_segment_fixed_size 0
		.amdhsa_kernarg_size 8
		.amdhsa_user_sgpr_count 2
		.amdhsa_user_sgpr_dispatch_ptr 0
		.amdhsa_user_sgpr_queue_ptr 0
		.amdhsa_user_sgpr_kernarg_segment_ptr 1
		.amdhsa_user_sgpr_dispatch_id 0
		.amdhsa_user_sgpr_kernarg_preload_length 0
		.amdhsa_user_sgpr_kernarg_preload_offset 0
		.amdhsa_user_sgpr_private_segment_size 0
		.amdhsa_wavefront_size32 1
		.amdhsa_uses_dynamic_stack 0
		.amdhsa_enable_private_segment 0
		.amdhsa_system_sgpr_workgroup_id_x 1
		.amdhsa_system_sgpr_workgroup_id_y 0
		.amdhsa_system_sgpr_workgroup_id_z 0
		.amdhsa_system_sgpr_workgroup_info 0
		.amdhsa_system_vgpr_workitem_id 0
		.amdhsa_next_free_vgpr 2
		.amdhsa_next_free_sgpr 3
		.amdhsa_named_barrier_count 0
		.amdhsa_reserve_vcc 0
		.amdhsa_float_round_mode_32 0
		.amdhsa_float_round_mode_16_64 0
		.amdhsa_float_denorm_mode_32 3
		.amdhsa_float_denorm_mode_16_64 3
		.amdhsa_fp16_overflow 0
		.amdhsa_memory_ordered 1
		.amdhsa_forward_progress 1
		.amdhsa_inst_pref_size 1
		.amdhsa_round_robin_scheduling 0
		.amdhsa_exception_fp_ieee_invalid_op 0
		.amdhsa_exception_fp_denorm_src 0
		.amdhsa_exception_fp_ieee_div_zero 0
		.amdhsa_exception_fp_ieee_overflow 0
		.amdhsa_exception_fp_ieee_underflow 0
		.amdhsa_exception_fp_ieee_inexact 0
		.amdhsa_exception_int_div_zero 0
	.end_amdhsa_kernel
	.section	.text._ZN9rocsparseL18csrgeam_index_baseILj1EiEEvPT0_,"axG",@progbits,_ZN9rocsparseL18csrgeam_index_baseILj1EiEEvPT0_,comdat
.Lfunc_end5:
	.size	_ZN9rocsparseL18csrgeam_index_baseILj1EiEEvPT0_, .Lfunc_end5-_ZN9rocsparseL18csrgeam_index_baseILj1EiEEvPT0_
                                        ; -- End function
	.set _ZN9rocsparseL18csrgeam_index_baseILj1EiEEvPT0_.num_vgpr, 2
	.set _ZN9rocsparseL18csrgeam_index_baseILj1EiEEvPT0_.num_agpr, 0
	.set _ZN9rocsparseL18csrgeam_index_baseILj1EiEEvPT0_.numbered_sgpr, 3
	.set _ZN9rocsparseL18csrgeam_index_baseILj1EiEEvPT0_.num_named_barrier, 0
	.set _ZN9rocsparseL18csrgeam_index_baseILj1EiEEvPT0_.private_seg_size, 0
	.set _ZN9rocsparseL18csrgeam_index_baseILj1EiEEvPT0_.uses_vcc, 0
	.set _ZN9rocsparseL18csrgeam_index_baseILj1EiEEvPT0_.uses_flat_scratch, 0
	.set _ZN9rocsparseL18csrgeam_index_baseILj1EiEEvPT0_.has_dyn_sized_stack, 0
	.set _ZN9rocsparseL18csrgeam_index_baseILj1EiEEvPT0_.has_recursion, 0
	.set _ZN9rocsparseL18csrgeam_index_baseILj1EiEEvPT0_.has_indirect_call, 0
	.section	.AMDGPU.csdata,"",@progbits
; Kernel info:
; codeLenInByte = 64
; TotalNumSgprs: 3
; NumVgprs: 2
; ScratchSize: 0
; MemoryBound: 0
; FloatMode: 240
; IeeeMode: 1
; LDSByteSize: 0 bytes/workgroup (compile time only)
; SGPRBlocks: 0
; VGPRBlocks: 0
; NumSGPRsForWavesPerEU: 3
; NumVGPRsForWavesPerEU: 2
; NamedBarCnt: 0
; Occupancy: 16
; WaveLimiterHint : 0
; COMPUTE_PGM_RSRC2:SCRATCH_EN: 0
; COMPUTE_PGM_RSRC2:USER_SGPR: 2
; COMPUTE_PGM_RSRC2:TRAP_HANDLER: 0
; COMPUTE_PGM_RSRC2:TGID_X_EN: 1
; COMPUTE_PGM_RSRC2:TGID_Y_EN: 0
; COMPUTE_PGM_RSRC2:TGID_Z_EN: 0
; COMPUTE_PGM_RSRC2:TIDIG_COMP_CNT: 0
	.section	.text._ZN9rocsparseL28csrgeam_nnz_multipass_deviceILj256ELj32EliiEEvllPKT1_PKT2_S3_S6_PT3_21rocsparse_index_base_S9_,"axG",@progbits,_ZN9rocsparseL28csrgeam_nnz_multipass_deviceILj256ELj32EliiEEvllPKT1_PKT2_S3_S6_PT3_21rocsparse_index_base_S9_,comdat
	.globl	_ZN9rocsparseL28csrgeam_nnz_multipass_deviceILj256ELj32EliiEEvllPKT1_PKT2_S3_S6_PT3_21rocsparse_index_base_S9_ ; -- Begin function _ZN9rocsparseL28csrgeam_nnz_multipass_deviceILj256ELj32EliiEEvllPKT1_PKT2_S3_S6_PT3_21rocsparse_index_base_S9_
	.p2align	8
	.type	_ZN9rocsparseL28csrgeam_nnz_multipass_deviceILj256ELj32EliiEEvllPKT1_PKT2_S3_S6_PT3_21rocsparse_index_base_S9_,@function
_ZN9rocsparseL28csrgeam_nnz_multipass_deviceILj256ELj32EliiEEvllPKT1_PKT2_S3_S6_PT3_21rocsparse_index_base_S9_: ; @_ZN9rocsparseL28csrgeam_nnz_multipass_deviceILj256ELj32EliiEEvllPKT1_PKT2_S3_S6_PT3_21rocsparse_index_base_S9_
; %bb.0:
	s_load_b128 s[4:7], s[0:1], 0x0
	s_bfe_u32 s2, ttmp6, 0x4000c
	s_and_b32 s3, ttmp6, 15
	s_add_co_i32 s2, s2, 1
	s_getreg_b32 s8, hwreg(HW_REG_IB_STS2, 6, 4)
	s_mul_i32 s2, ttmp9, s2
	v_dual_lshrrev_b32 v1, 5, v0 :: v_dual_mov_b32 v11, 0
	s_add_co_i32 s3, s3, s2
	s_cmp_eq_u32 s8, 0
	s_mov_b32 s13, 0
	s_cselect_b32 s2, ttmp9, s3
	s_delay_alu instid0(SALU_CYCLE_1) | instskip(NEXT) | instid1(SALU_CYCLE_1)
	s_lshl_b32 s2, s2, 3
	v_and_or_b32 v10, 0x7fffff8, s2, v1
	s_mov_b32 s2, exec_lo
	s_wait_kmcnt 0x0
	s_delay_alu instid0(VALU_DEP_1)
	v_cmpx_gt_i64_e64 s[4:5], v[10:11]
	s_cbranch_execz .LBB6_31
; %bb.1:
	s_clause 0x1
	s_load_b64 s[4:5], s[0:1], 0x10
	s_load_b64 s[8:9], s[0:1], 0x20
	v_lshlrev_b32_e32 v1, 3, v10
	s_load_b64 s[2:3], s[0:1], 0x38
	s_wait_kmcnt 0x0
	s_clause 0x1
	global_load_b128 v[2:5], v1, s[4:5]
	global_load_b128 v[6:9], v1, s[8:9]
	s_wait_xcnt 0x1
	s_mov_b32 s4, exec_lo
	s_mov_b32 s12, s2
	s_wait_loadcnt 0x1
	s_wait_xcnt 0x0
	v_cmpx_ge_i64_e64 v[2:3], v[4:5]
	s_xor_b32 s4, exec_lo, s4
	s_delay_alu instid0(SALU_CYCLE_1)
	s_or_saveexec_b32 s8, s4
	s_load_b64 s[4:5], s[0:1], 0x18
	v_sub_nc_u64_e64 v[14:15], v[2:3], s[12:13]
	v_mov_b32_e32 v12, s6
	s_xor_b32 exec_lo, exec_lo, s8
	s_cbranch_execz .LBB6_3
; %bb.2:
	s_wait_kmcnt 0x0
	s_delay_alu instid0(VALU_DEP_2)
	v_lshl_add_u64 v[2:3], v[14:15], 2, s[4:5]
	global_load_b32 v1, v[2:3], off
	s_wait_loadcnt 0x0
	v_subrev_nc_u32_e32 v12, s2, v1
.LBB6_3:
	s_or_b32 exec_lo, exec_lo, s8
	v_mov_b32_e32 v11, s6
	s_mov_b32 s15, 0
	s_mov_b32 s14, s3
	s_mov_b32 s8, exec_lo
	s_wait_loadcnt 0x0
	v_cmpx_ge_i64_e64 v[6:7], v[8:9]
	s_xor_b32 s8, exec_lo, s8
; %bb.4:
	v_mov_b32_e32 v11, s6
; %bb.5:
	s_or_saveexec_b32 s16, s8
	s_load_b128 s[8:11], s[0:1], 0x28
	v_sub_nc_u64_e64 v[16:17], v[6:7], s[14:15]
	s_delay_alu instid0(VALU_DEP_2)
	v_mov_b32_e32 v6, v11
	s_xor_b32 exec_lo, exec_lo, s16
	s_cbranch_execz .LBB6_7
; %bb.6:
	s_wait_kmcnt 0x0
	s_delay_alu instid0(VALU_DEP_2)
	v_lshl_add_u64 v[2:3], v[16:17], 2, s[8:9]
	global_load_b32 v1, v[2:3], off
	s_wait_loadcnt 0x0
	v_subrev_nc_u32_e32 v6, s3, v1
.LBB6_7:
	s_or_b32 exec_lo, exec_lo, s16
	v_and_b32_e32 v18, 0xe0, v0
	v_mbcnt_lo_u32_b32 v13, -1, 0
	v_dual_mov_b32 v1, 0 :: v_dual_bitop2_b32 v0, 31, v0 bitop3:0x40
	v_sub_nc_u64_e64 v[2:3], v[4:5], s[12:13]
	v_sub_nc_u64_e64 v[4:5], v[8:9], s[14:15]
	v_min_i32_e32 v12, v6, v12
	s_wait_xcnt 0x0
	s_mov_b32 s1, 0
	v_add_nc_u64_e32 v[6:7], v[14:15], v[0:1]
	v_add_nc_u64_e32 v[8:9], v[16:17], v[0:1]
	v_xor_b32_e32 v16, 4, v13
	v_xor_b32_e32 v14, 8, v13
	v_xor_b32_e32 v19, 16, v13
	s_mov_b32 s12, 0
	v_dual_mov_b32 v23, 1 :: v_dual_add_nc_u32 v22, v18, v0
	s_delay_alu instid0(VALU_DEP_2)
	v_cmp_gt_i32_e32 vcc_lo, 32, v19
	v_cndmask_b32_e32 v15, v13, v19, vcc_lo
	v_cmp_gt_i32_e32 vcc_lo, 32, v14
	v_dual_cndmask_b32 v14, v13, v14, vcc_lo :: v_dual_bitop2_b32 v17, 2, v13 bitop3:0x14
	v_cmp_gt_i32_e32 vcc_lo, 32, v16
	v_dual_cndmask_b32 v20, v13, v16, vcc_lo :: v_dual_bitop2_b32 v19, 1, v13 bitop3:0x14
	v_lshlrev_b32_e32 v16, 2, v15
	s_delay_alu instid0(VALU_DEP_4) | instskip(SKIP_1) | instid1(VALU_DEP_4)
	v_cmp_gt_i32_e32 vcc_lo, 32, v17
	v_dual_cndmask_b32 v21, v13, v17, vcc_lo :: v_dual_lshlrev_b32 v17, 2, v14
	v_cmp_gt_i32_e32 vcc_lo, 32, v19
	v_dual_cndmask_b32 v13, v13, v19, vcc_lo :: v_dual_lshlrev_b32 v19, 2, v20
	s_delay_alu instid0(VALU_DEP_3) | instskip(NEXT) | instid1(VALU_DEP_2)
	v_lshlrev_b32_e32 v20, 2, v21
	v_lshlrev_b32_e32 v21, 2, v13
	s_branch .LBB6_10
.LBB6_8:                                ;   in Loop: Header=BB6_10 Depth=1
	s_or_b32 exec_lo, exec_lo, s14
.LBB6_9:                                ;   in Loop: Header=BB6_10 Depth=1
	s_delay_alu instid0(SALU_CYCLE_1)
	s_or_b32 exec_lo, exec_lo, s13
	s_wait_dscnt 0x0
	ds_load_u8 v14, v22
	ds_bpermute_b32 v12, v16, v13
	s_wait_dscnt 0x1
	v_cmp_ne_u16_e32 vcc_lo, 0, v14
	s_bcnt1_i32_b32 s13, vcc_lo
	s_delay_alu instid0(SALU_CYCLE_1)
	s_add_co_i32 s12, s13, s12
	s_wait_dscnt 0x0
	v_min_i32_e32 v12, v12, v13
	ds_bpermute_b32 v13, v17, v12
	s_wait_dscnt 0x0
	v_min_i32_e32 v12, v13, v12
	ds_bpermute_b32 v13, v19, v12
	;; [unrolled: 3-line block ×4, first 2 shown]
	s_wait_dscnt 0x0
	v_min_i32_e32 v12, v13, v12
	s_delay_alu instid0(VALU_DEP_1) | instskip(NEXT) | instid1(VALU_DEP_1)
	v_ashrrev_i32_e32 v13, 31, v12
	v_cmp_le_i64_e64 s0, s[6:7], v[12:13]
	v_mov_b32_e32 v13, s12
	s_or_b32 s1, s0, s1
	s_delay_alu instid0(SALU_CYCLE_1)
	s_and_not1_b32 exec_lo, exec_lo, s1
	s_cbranch_execz .LBB6_29
.LBB6_10:                               ; =>This Loop Header: Depth=1
                                        ;     Child Loop BB6_13 Depth 2
                                        ;     Child Loop BB6_23 Depth 2
	v_mov_b32_e32 v13, v11
	s_mov_b32 s13, exec_lo
	ds_store_b8 v22, v1
	s_wait_dscnt 0x0
	v_cmpx_lt_i64_e64 v[6:7], v[2:3]
	s_cbranch_execz .LBB6_20
; %bb.11:                               ;   in Loop: Header=BB6_10 Depth=1
	s_wait_kmcnt 0x0
	v_lshl_add_u64 v[14:15], v[6:7], 2, s[4:5]
	v_mov_b32_e32 v13, v11
	s_mov_b32 s14, 0
	s_branch .LBB6_13
.LBB6_12:                               ;   in Loop: Header=BB6_13 Depth=2
	s_or_b32 exec_lo, exec_lo, s15
	s_delay_alu instid0(SALU_CYCLE_1) | instskip(NEXT) | instid1(SALU_CYCLE_1)
	s_and_b32 s0, exec_lo, s0
	s_or_b32 s14, s0, s14
	s_delay_alu instid0(SALU_CYCLE_1)
	s_and_not1_b32 exec_lo, exec_lo, s14
	s_cbranch_execz .LBB6_19
.LBB6_13:                               ;   Parent Loop BB6_10 Depth=1
                                        ; =>  This Inner Loop Header: Depth=2
	global_load_b32 v24, v[14:15], off
	s_wait_loadcnt 0x0
	v_subrev_nc_u32_e32 v25, s2, v24
	s_delay_alu instid0(VALU_DEP_1) | instskip(NEXT) | instid1(VALU_DEP_1)
	v_sub_nc_u32_e32 v24, v25, v12
	v_cmp_lt_u32_e64 s0, 31, v24
	v_cmp_gt_u32_e32 vcc_lo, 32, v24
	s_wait_xcnt 0x0
	s_and_saveexec_b32 s15, s0
	s_delay_alu instid0(SALU_CYCLE_1)
	s_xor_b32 s0, exec_lo, s15
	s_cbranch_execnz .LBB6_16
; %bb.14:                               ;   in Loop: Header=BB6_13 Depth=2
	s_and_not1_saveexec_b32 s0, s0
	s_cbranch_execnz .LBB6_17
.LBB6_15:                               ;   in Loop: Header=BB6_13 Depth=2
	s_or_b32 exec_lo, exec_lo, s0
	s_mov_b32 s0, -1
	s_and_saveexec_b32 s15, vcc_lo
	s_cbranch_execz .LBB6_12
	s_branch .LBB6_18
.LBB6_16:                               ;   in Loop: Header=BB6_13 Depth=2
	v_min_i32_e32 v13, v25, v13
                                        ; implicit-def: $vgpr24
	s_and_not1_saveexec_b32 s0, s0
	s_cbranch_execz .LBB6_15
.LBB6_17:                               ;   in Loop: Header=BB6_13 Depth=2
	v_add_nc_u32_e32 v24, v18, v24
	ds_store_b8 v24, v23
	s_or_b32 exec_lo, exec_lo, s0
	s_mov_b32 s0, -1
	s_and_saveexec_b32 s15, vcc_lo
	s_cbranch_execz .LBB6_12
.LBB6_18:                               ;   in Loop: Header=BB6_13 Depth=2
	v_add_nc_u64_e32 v[6:7], 32, v[6:7]
	v_add_nc_u64_e32 v[14:15], 0x80, v[14:15]
	s_delay_alu instid0(VALU_DEP_2)
	v_cmp_ge_i64_e32 vcc_lo, v[6:7], v[2:3]
	s_or_not1_b32 s0, vcc_lo, exec_lo
	s_branch .LBB6_12
.LBB6_19:                               ;   in Loop: Header=BB6_10 Depth=1
	s_or_b32 exec_lo, exec_lo, s14
.LBB6_20:                               ;   in Loop: Header=BB6_10 Depth=1
	s_delay_alu instid0(SALU_CYCLE_1) | instskip(NEXT) | instid1(SALU_CYCLE_1)
	s_or_b32 exec_lo, exec_lo, s13
	s_mov_b32 s13, exec_lo
	v_cmpx_lt_i64_e64 v[8:9], v[4:5]
	s_cbranch_execz .LBB6_9
; %bb.21:                               ;   in Loop: Header=BB6_10 Depth=1
	s_wait_kmcnt 0x0
	v_lshl_add_u64 v[14:15], v[8:9], 2, s[8:9]
	s_mov_b32 s14, 0
	s_branch .LBB6_23
.LBB6_22:                               ;   in Loop: Header=BB6_23 Depth=2
	s_or_b32 exec_lo, exec_lo, s15
	s_delay_alu instid0(SALU_CYCLE_1) | instskip(NEXT) | instid1(SALU_CYCLE_1)
	s_and_b32 s0, exec_lo, s0
	s_or_b32 s14, s0, s14
	s_delay_alu instid0(SALU_CYCLE_1)
	s_and_not1_b32 exec_lo, exec_lo, s14
	s_cbranch_execz .LBB6_8
.LBB6_23:                               ;   Parent Loop BB6_10 Depth=1
                                        ; =>  This Inner Loop Header: Depth=2
	global_load_b32 v24, v[14:15], off
	s_wait_loadcnt 0x0
	v_subrev_nc_u32_e32 v25, s3, v24
	s_delay_alu instid0(VALU_DEP_1) | instskip(NEXT) | instid1(VALU_DEP_1)
	v_sub_nc_u32_e32 v24, v25, v12
	v_cmp_lt_u32_e64 s0, 31, v24
	v_cmp_gt_u32_e32 vcc_lo, 32, v24
	s_and_saveexec_b32 s15, s0
	s_delay_alu instid0(SALU_CYCLE_1)
	s_xor_b32 s0, exec_lo, s15
	s_cbranch_execnz .LBB6_26
; %bb.24:                               ;   in Loop: Header=BB6_23 Depth=2
	s_and_not1_saveexec_b32 s0, s0
	s_cbranch_execnz .LBB6_27
.LBB6_25:                               ;   in Loop: Header=BB6_23 Depth=2
	s_or_b32 exec_lo, exec_lo, s0
	s_mov_b32 s0, -1
	s_and_saveexec_b32 s15, vcc_lo
	s_cbranch_execz .LBB6_22
	s_branch .LBB6_28
.LBB6_26:                               ;   in Loop: Header=BB6_23 Depth=2
	v_min_i32_e32 v13, v25, v13
                                        ; implicit-def: $vgpr24
	s_and_not1_saveexec_b32 s0, s0
	s_cbranch_execz .LBB6_25
.LBB6_27:                               ;   in Loop: Header=BB6_23 Depth=2
	v_add_nc_u32_e32 v24, v18, v24
	ds_store_b8 v24, v23
	s_or_b32 exec_lo, exec_lo, s0
	s_mov_b32 s0, -1
	s_and_saveexec_b32 s15, vcc_lo
	s_cbranch_execz .LBB6_22
.LBB6_28:                               ;   in Loop: Header=BB6_23 Depth=2
	v_add_nc_u64_e32 v[8:9], 32, v[8:9]
	v_add_nc_u64_e32 v[14:15], 0x80, v[14:15]
	s_delay_alu instid0(VALU_DEP_2)
	v_cmp_ge_i64_e32 vcc_lo, v[8:9], v[4:5]
	s_or_not1_b32 s0, vcc_lo, exec_lo
	s_branch .LBB6_22
.LBB6_29:
	s_or_b32 exec_lo, exec_lo, s1
	v_cmp_eq_u32_e32 vcc_lo, 31, v0
	s_and_b32 exec_lo, exec_lo, vcc_lo
	s_cbranch_execz .LBB6_31
; %bb.30:
	s_wait_kmcnt 0x0
	global_store_b32 v10, v13, s[10:11] scale_offset
.LBB6_31:
	s_endpgm
	.section	.rodata,"a",@progbits
	.p2align	6, 0x0
	.amdhsa_kernel _ZN9rocsparseL28csrgeam_nnz_multipass_deviceILj256ELj32EliiEEvllPKT1_PKT2_S3_S6_PT3_21rocsparse_index_base_S9_
		.amdhsa_group_segment_fixed_size 256
		.amdhsa_private_segment_fixed_size 0
		.amdhsa_kernarg_size 64
		.amdhsa_user_sgpr_count 2
		.amdhsa_user_sgpr_dispatch_ptr 0
		.amdhsa_user_sgpr_queue_ptr 0
		.amdhsa_user_sgpr_kernarg_segment_ptr 1
		.amdhsa_user_sgpr_dispatch_id 0
		.amdhsa_user_sgpr_kernarg_preload_length 0
		.amdhsa_user_sgpr_kernarg_preload_offset 0
		.amdhsa_user_sgpr_private_segment_size 0
		.amdhsa_wavefront_size32 1
		.amdhsa_uses_dynamic_stack 0
		.amdhsa_enable_private_segment 0
		.amdhsa_system_sgpr_workgroup_id_x 1
		.amdhsa_system_sgpr_workgroup_id_y 0
		.amdhsa_system_sgpr_workgroup_id_z 0
		.amdhsa_system_sgpr_workgroup_info 0
		.amdhsa_system_vgpr_workitem_id 0
		.amdhsa_next_free_vgpr 26
		.amdhsa_next_free_sgpr 17
		.amdhsa_named_barrier_count 0
		.amdhsa_reserve_vcc 1
		.amdhsa_float_round_mode_32 0
		.amdhsa_float_round_mode_16_64 0
		.amdhsa_float_denorm_mode_32 3
		.amdhsa_float_denorm_mode_16_64 3
		.amdhsa_fp16_overflow 0
		.amdhsa_memory_ordered 1
		.amdhsa_forward_progress 1
		.amdhsa_inst_pref_size 10
		.amdhsa_round_robin_scheduling 0
		.amdhsa_exception_fp_ieee_invalid_op 0
		.amdhsa_exception_fp_denorm_src 0
		.amdhsa_exception_fp_ieee_div_zero 0
		.amdhsa_exception_fp_ieee_overflow 0
		.amdhsa_exception_fp_ieee_underflow 0
		.amdhsa_exception_fp_ieee_inexact 0
		.amdhsa_exception_int_div_zero 0
	.end_amdhsa_kernel
	.section	.text._ZN9rocsparseL28csrgeam_nnz_multipass_deviceILj256ELj32EliiEEvllPKT1_PKT2_S3_S6_PT3_21rocsparse_index_base_S9_,"axG",@progbits,_ZN9rocsparseL28csrgeam_nnz_multipass_deviceILj256ELj32EliiEEvllPKT1_PKT2_S3_S6_PT3_21rocsparse_index_base_S9_,comdat
.Lfunc_end6:
	.size	_ZN9rocsparseL28csrgeam_nnz_multipass_deviceILj256ELj32EliiEEvllPKT1_PKT2_S3_S6_PT3_21rocsparse_index_base_S9_, .Lfunc_end6-_ZN9rocsparseL28csrgeam_nnz_multipass_deviceILj256ELj32EliiEEvllPKT1_PKT2_S3_S6_PT3_21rocsparse_index_base_S9_
                                        ; -- End function
	.set _ZN9rocsparseL28csrgeam_nnz_multipass_deviceILj256ELj32EliiEEvllPKT1_PKT2_S3_S6_PT3_21rocsparse_index_base_S9_.num_vgpr, 26
	.set _ZN9rocsparseL28csrgeam_nnz_multipass_deviceILj256ELj32EliiEEvllPKT1_PKT2_S3_S6_PT3_21rocsparse_index_base_S9_.num_agpr, 0
	.set _ZN9rocsparseL28csrgeam_nnz_multipass_deviceILj256ELj32EliiEEvllPKT1_PKT2_S3_S6_PT3_21rocsparse_index_base_S9_.numbered_sgpr, 17
	.set _ZN9rocsparseL28csrgeam_nnz_multipass_deviceILj256ELj32EliiEEvllPKT1_PKT2_S3_S6_PT3_21rocsparse_index_base_S9_.num_named_barrier, 0
	.set _ZN9rocsparseL28csrgeam_nnz_multipass_deviceILj256ELj32EliiEEvllPKT1_PKT2_S3_S6_PT3_21rocsparse_index_base_S9_.private_seg_size, 0
	.set _ZN9rocsparseL28csrgeam_nnz_multipass_deviceILj256ELj32EliiEEvllPKT1_PKT2_S3_S6_PT3_21rocsparse_index_base_S9_.uses_vcc, 1
	.set _ZN9rocsparseL28csrgeam_nnz_multipass_deviceILj256ELj32EliiEEvllPKT1_PKT2_S3_S6_PT3_21rocsparse_index_base_S9_.uses_flat_scratch, 0
	.set _ZN9rocsparseL28csrgeam_nnz_multipass_deviceILj256ELj32EliiEEvllPKT1_PKT2_S3_S6_PT3_21rocsparse_index_base_S9_.has_dyn_sized_stack, 0
	.set _ZN9rocsparseL28csrgeam_nnz_multipass_deviceILj256ELj32EliiEEvllPKT1_PKT2_S3_S6_PT3_21rocsparse_index_base_S9_.has_recursion, 0
	.set _ZN9rocsparseL28csrgeam_nnz_multipass_deviceILj256ELj32EliiEEvllPKT1_PKT2_S3_S6_PT3_21rocsparse_index_base_S9_.has_indirect_call, 0
	.section	.AMDGPU.csdata,"",@progbits
; Kernel info:
; codeLenInByte = 1240
; TotalNumSgprs: 19
; NumVgprs: 26
; ScratchSize: 0
; MemoryBound: 0
; FloatMode: 240
; IeeeMode: 1
; LDSByteSize: 256 bytes/workgroup (compile time only)
; SGPRBlocks: 0
; VGPRBlocks: 1
; NumSGPRsForWavesPerEU: 19
; NumVGPRsForWavesPerEU: 26
; NamedBarCnt: 0
; Occupancy: 16
; WaveLimiterHint : 1
; COMPUTE_PGM_RSRC2:SCRATCH_EN: 0
; COMPUTE_PGM_RSRC2:USER_SGPR: 2
; COMPUTE_PGM_RSRC2:TRAP_HANDLER: 0
; COMPUTE_PGM_RSRC2:TGID_X_EN: 1
; COMPUTE_PGM_RSRC2:TGID_Y_EN: 0
; COMPUTE_PGM_RSRC2:TGID_Z_EN: 0
; COMPUTE_PGM_RSRC2:TIDIG_COMP_CNT: 0
	.section	.text._ZN9rocsparseL28csrgeam_nnz_multipass_deviceILj256ELj32ElilEEvllPKT1_PKT2_S3_S6_PT3_21rocsparse_index_base_S9_,"axG",@progbits,_ZN9rocsparseL28csrgeam_nnz_multipass_deviceILj256ELj32ElilEEvllPKT1_PKT2_S3_S6_PT3_21rocsparse_index_base_S9_,comdat
	.globl	_ZN9rocsparseL28csrgeam_nnz_multipass_deviceILj256ELj32ElilEEvllPKT1_PKT2_S3_S6_PT3_21rocsparse_index_base_S9_ ; -- Begin function _ZN9rocsparseL28csrgeam_nnz_multipass_deviceILj256ELj32ElilEEvllPKT1_PKT2_S3_S6_PT3_21rocsparse_index_base_S9_
	.p2align	8
	.type	_ZN9rocsparseL28csrgeam_nnz_multipass_deviceILj256ELj32ElilEEvllPKT1_PKT2_S3_S6_PT3_21rocsparse_index_base_S9_,@function
_ZN9rocsparseL28csrgeam_nnz_multipass_deviceILj256ELj32ElilEEvllPKT1_PKT2_S3_S6_PT3_21rocsparse_index_base_S9_: ; @_ZN9rocsparseL28csrgeam_nnz_multipass_deviceILj256ELj32ElilEEvllPKT1_PKT2_S3_S6_PT3_21rocsparse_index_base_S9_
; %bb.0:
	s_load_b128 s[4:7], s[0:1], 0x0
	s_bfe_u32 s2, ttmp6, 0x4000c
	s_and_b32 s3, ttmp6, 15
	s_add_co_i32 s2, s2, 1
	s_getreg_b32 s8, hwreg(HW_REG_IB_STS2, 6, 4)
	s_mul_i32 s2, ttmp9, s2
	v_dual_lshrrev_b32 v1, 5, v0 :: v_dual_mov_b32 v11, 0
	s_add_co_i32 s3, s3, s2
	s_cmp_eq_u32 s8, 0
	s_mov_b32 s13, 0
	s_cselect_b32 s2, ttmp9, s3
	s_delay_alu instid0(SALU_CYCLE_1) | instskip(NEXT) | instid1(SALU_CYCLE_1)
	s_lshl_b32 s2, s2, 3
	v_and_or_b32 v10, 0x7fffff8, s2, v1
	s_mov_b32 s2, exec_lo
	s_wait_kmcnt 0x0
	s_delay_alu instid0(VALU_DEP_1)
	v_cmpx_gt_i64_e64 s[4:5], v[10:11]
	s_cbranch_execz .LBB7_31
; %bb.1:
	s_clause 0x1
	s_load_b64 s[4:5], s[0:1], 0x10
	s_load_b64 s[8:9], s[0:1], 0x20
	v_lshlrev_b32_e32 v1, 3, v10
	s_load_b64 s[2:3], s[0:1], 0x38
	s_wait_kmcnt 0x0
	s_clause 0x1
	global_load_b128 v[2:5], v1, s[4:5]
	global_load_b128 v[6:9], v1, s[8:9]
	s_wait_xcnt 0x1
	s_mov_b32 s4, exec_lo
	s_mov_b32 s12, s2
	s_wait_loadcnt 0x1
	s_wait_xcnt 0x0
	v_cmpx_ge_i64_e64 v[2:3], v[4:5]
	s_xor_b32 s4, exec_lo, s4
	s_delay_alu instid0(SALU_CYCLE_1)
	s_or_saveexec_b32 s8, s4
	s_load_b64 s[4:5], s[0:1], 0x18
	v_sub_nc_u64_e64 v[14:15], v[2:3], s[12:13]
	v_mov_b32_e32 v12, s6
	s_xor_b32 exec_lo, exec_lo, s8
	s_cbranch_execz .LBB7_3
; %bb.2:
	s_wait_kmcnt 0x0
	s_delay_alu instid0(VALU_DEP_2)
	v_lshl_add_u64 v[2:3], v[14:15], 2, s[4:5]
	global_load_b32 v1, v[2:3], off
	s_wait_loadcnt 0x0
	v_subrev_nc_u32_e32 v12, s2, v1
.LBB7_3:
	s_or_b32 exec_lo, exec_lo, s8
	v_mov_b32_e32 v11, s6
	s_mov_b32 s15, 0
	s_mov_b32 s14, s3
	s_mov_b32 s8, exec_lo
	s_wait_loadcnt 0x0
	v_cmpx_ge_i64_e64 v[6:7], v[8:9]
	s_xor_b32 s8, exec_lo, s8
; %bb.4:
	v_mov_b32_e32 v11, s6
; %bb.5:
	s_or_saveexec_b32 s16, s8
	s_load_b128 s[8:11], s[0:1], 0x28
	v_sub_nc_u64_e64 v[16:17], v[6:7], s[14:15]
	s_delay_alu instid0(VALU_DEP_2)
	v_mov_b32_e32 v6, v11
	s_xor_b32 exec_lo, exec_lo, s16
	s_cbranch_execz .LBB7_7
; %bb.6:
	s_wait_kmcnt 0x0
	s_delay_alu instid0(VALU_DEP_2)
	v_lshl_add_u64 v[2:3], v[16:17], 2, s[8:9]
	global_load_b32 v1, v[2:3], off
	s_wait_loadcnt 0x0
	v_subrev_nc_u32_e32 v6, s3, v1
.LBB7_7:
	s_or_b32 exec_lo, exec_lo, s16
	v_and_b32_e32 v18, 0xe0, v0
	v_mbcnt_lo_u32_b32 v13, -1, 0
	v_dual_mov_b32 v1, 0 :: v_dual_bitop2_b32 v0, 31, v0 bitop3:0x40
	v_sub_nc_u64_e64 v[2:3], v[4:5], s[12:13]
	v_sub_nc_u64_e64 v[4:5], v[8:9], s[14:15]
	v_min_i32_e32 v12, v6, v12
	s_mov_b64 s[14:15], 0
	v_add_nc_u64_e32 v[6:7], v[14:15], v[0:1]
	v_add_nc_u64_e32 v[8:9], v[16:17], v[0:1]
	v_xor_b32_e32 v16, 4, v13
	v_xor_b32_e32 v14, 8, v13
	;; [unrolled: 1-line block ×3, first 2 shown]
	s_wait_xcnt 0x0
	s_mov_b32 s1, 0
	v_dual_mov_b32 v23, 1 :: v_dual_add_nc_u32 v22, v18, v0
	s_delay_alu instid0(VALU_DEP_2)
	v_cmp_gt_i32_e32 vcc_lo, 32, v19
	v_cndmask_b32_e32 v15, v13, v19, vcc_lo
	v_cmp_gt_i32_e32 vcc_lo, 32, v14
	v_dual_cndmask_b32 v14, v13, v14, vcc_lo :: v_dual_bitop2_b32 v17, 2, v13 bitop3:0x14
	v_cmp_gt_i32_e32 vcc_lo, 32, v16
	v_dual_cndmask_b32 v20, v13, v16, vcc_lo :: v_dual_bitop2_b32 v19, 1, v13 bitop3:0x14
	v_lshlrev_b32_e32 v16, 2, v15
	s_delay_alu instid0(VALU_DEP_4) | instskip(SKIP_1) | instid1(VALU_DEP_4)
	v_cmp_gt_i32_e32 vcc_lo, 32, v17
	v_dual_cndmask_b32 v21, v13, v17, vcc_lo :: v_dual_lshlrev_b32 v17, 2, v14
	v_cmp_gt_i32_e32 vcc_lo, 32, v19
	v_dual_cndmask_b32 v13, v13, v19, vcc_lo :: v_dual_lshlrev_b32 v19, 2, v20
	s_delay_alu instid0(VALU_DEP_3) | instskip(NEXT) | instid1(VALU_DEP_2)
	v_lshlrev_b32_e32 v20, 2, v21
	v_lshlrev_b32_e32 v21, 2, v13
	s_branch .LBB7_10
.LBB7_8:                                ;   in Loop: Header=BB7_10 Depth=1
	s_or_b32 exec_lo, exec_lo, s16
.LBB7_9:                                ;   in Loop: Header=BB7_10 Depth=1
	s_delay_alu instid0(SALU_CYCLE_1)
	s_or_b32 exec_lo, exec_lo, s12
	ds_bpermute_b32 v12, v16, v13
	s_wait_dscnt 0x0
	ds_load_u8 v14, v22
	v_min_i32_e32 v12, v12, v13
	s_wait_dscnt 0x0
	v_cmp_ne_u16_e32 vcc_lo, 0, v14
	ds_bpermute_b32 v13, v17, v12
	s_bcnt1_i32_b32 s12, vcc_lo
	s_delay_alu instid0(SALU_CYCLE_1) | instskip(NEXT) | instid1(SALU_CYCLE_1)
	s_add_nc_u64 s[14:15], s[14:15], s[12:13]
	v_mov_b64_e32 v[14:15], s[14:15]
	s_wait_dscnt 0x0
	v_min_i32_e32 v12, v13, v12
	ds_bpermute_b32 v13, v19, v12
	s_wait_dscnt 0x0
	v_min_i32_e32 v12, v13, v12
	ds_bpermute_b32 v13, v20, v12
	s_wait_dscnt 0x0
	v_min_i32_e32 v12, v13, v12
	ds_bpermute_b32 v13, v21, v12
	s_wait_dscnt 0x0
	v_min_i32_e32 v12, v13, v12
	s_delay_alu instid0(VALU_DEP_1) | instskip(NEXT) | instid1(VALU_DEP_1)
	v_ashrrev_i32_e32 v13, 31, v12
	v_cmp_le_i64_e64 s0, s[6:7], v[12:13]
	s_or_b32 s1, s0, s1
	s_delay_alu instid0(SALU_CYCLE_1)
	s_and_not1_b32 exec_lo, exec_lo, s1
	s_cbranch_execz .LBB7_29
.LBB7_10:                               ; =>This Loop Header: Depth=1
                                        ;     Child Loop BB7_13 Depth 2
                                        ;     Child Loop BB7_23 Depth 2
	v_mov_b32_e32 v13, v11
	s_mov_b32 s12, exec_lo
	ds_store_b8 v22, v1
	s_wait_dscnt 0x0
	v_cmpx_lt_i64_e64 v[6:7], v[2:3]
	s_cbranch_execz .LBB7_20
; %bb.11:                               ;   in Loop: Header=BB7_10 Depth=1
	s_wait_kmcnt 0x0
	v_lshl_add_u64 v[14:15], v[6:7], 2, s[4:5]
	v_mov_b32_e32 v13, v11
	s_mov_b32 s16, 0
	s_branch .LBB7_13
.LBB7_12:                               ;   in Loop: Header=BB7_13 Depth=2
	s_or_b32 exec_lo, exec_lo, s17
	s_delay_alu instid0(SALU_CYCLE_1) | instskip(NEXT) | instid1(SALU_CYCLE_1)
	s_and_b32 s0, exec_lo, s0
	s_or_b32 s16, s0, s16
	s_delay_alu instid0(SALU_CYCLE_1)
	s_and_not1_b32 exec_lo, exec_lo, s16
	s_cbranch_execz .LBB7_19
.LBB7_13:                               ;   Parent Loop BB7_10 Depth=1
                                        ; =>  This Inner Loop Header: Depth=2
	global_load_b32 v24, v[14:15], off
	s_wait_loadcnt 0x0
	v_subrev_nc_u32_e32 v25, s2, v24
	s_delay_alu instid0(VALU_DEP_1) | instskip(NEXT) | instid1(VALU_DEP_1)
	v_sub_nc_u32_e32 v24, v25, v12
	v_cmp_lt_u32_e64 s0, 31, v24
	v_cmp_gt_u32_e32 vcc_lo, 32, v24
	s_wait_xcnt 0x0
	s_and_saveexec_b32 s17, s0
	s_delay_alu instid0(SALU_CYCLE_1)
	s_xor_b32 s0, exec_lo, s17
	s_cbranch_execnz .LBB7_16
; %bb.14:                               ;   in Loop: Header=BB7_13 Depth=2
	s_and_not1_saveexec_b32 s0, s0
	s_cbranch_execnz .LBB7_17
.LBB7_15:                               ;   in Loop: Header=BB7_13 Depth=2
	s_or_b32 exec_lo, exec_lo, s0
	s_mov_b32 s0, -1
	s_and_saveexec_b32 s17, vcc_lo
	s_cbranch_execz .LBB7_12
	s_branch .LBB7_18
.LBB7_16:                               ;   in Loop: Header=BB7_13 Depth=2
	v_min_i32_e32 v13, v25, v13
                                        ; implicit-def: $vgpr24
	s_and_not1_saveexec_b32 s0, s0
	s_cbranch_execz .LBB7_15
.LBB7_17:                               ;   in Loop: Header=BB7_13 Depth=2
	v_add_nc_u32_e32 v24, v18, v24
	ds_store_b8 v24, v23
	s_or_b32 exec_lo, exec_lo, s0
	s_mov_b32 s0, -1
	s_and_saveexec_b32 s17, vcc_lo
	s_cbranch_execz .LBB7_12
.LBB7_18:                               ;   in Loop: Header=BB7_13 Depth=2
	v_add_nc_u64_e32 v[6:7], 32, v[6:7]
	v_add_nc_u64_e32 v[14:15], 0x80, v[14:15]
	s_delay_alu instid0(VALU_DEP_2)
	v_cmp_ge_i64_e32 vcc_lo, v[6:7], v[2:3]
	s_or_not1_b32 s0, vcc_lo, exec_lo
	s_branch .LBB7_12
.LBB7_19:                               ;   in Loop: Header=BB7_10 Depth=1
	s_or_b32 exec_lo, exec_lo, s16
.LBB7_20:                               ;   in Loop: Header=BB7_10 Depth=1
	s_delay_alu instid0(SALU_CYCLE_1) | instskip(NEXT) | instid1(SALU_CYCLE_1)
	s_or_b32 exec_lo, exec_lo, s12
	s_mov_b32 s12, exec_lo
	v_cmpx_lt_i64_e64 v[8:9], v[4:5]
	s_cbranch_execz .LBB7_9
; %bb.21:                               ;   in Loop: Header=BB7_10 Depth=1
	s_wait_kmcnt 0x0
	v_lshl_add_u64 v[14:15], v[8:9], 2, s[8:9]
	s_mov_b32 s16, 0
	s_branch .LBB7_23
.LBB7_22:                               ;   in Loop: Header=BB7_23 Depth=2
	s_or_b32 exec_lo, exec_lo, s17
	s_delay_alu instid0(SALU_CYCLE_1) | instskip(NEXT) | instid1(SALU_CYCLE_1)
	s_and_b32 s0, exec_lo, s0
	s_or_b32 s16, s0, s16
	s_delay_alu instid0(SALU_CYCLE_1)
	s_and_not1_b32 exec_lo, exec_lo, s16
	s_cbranch_execz .LBB7_8
.LBB7_23:                               ;   Parent Loop BB7_10 Depth=1
                                        ; =>  This Inner Loop Header: Depth=2
	global_load_b32 v24, v[14:15], off
	s_wait_loadcnt 0x0
	v_subrev_nc_u32_e32 v25, s3, v24
	s_delay_alu instid0(VALU_DEP_1) | instskip(NEXT) | instid1(VALU_DEP_1)
	v_sub_nc_u32_e32 v24, v25, v12
	v_cmp_lt_u32_e64 s0, 31, v24
	v_cmp_gt_u32_e32 vcc_lo, 32, v24
	s_and_saveexec_b32 s17, s0
	s_delay_alu instid0(SALU_CYCLE_1)
	s_xor_b32 s0, exec_lo, s17
	s_cbranch_execnz .LBB7_26
; %bb.24:                               ;   in Loop: Header=BB7_23 Depth=2
	s_and_not1_saveexec_b32 s0, s0
	s_cbranch_execnz .LBB7_27
.LBB7_25:                               ;   in Loop: Header=BB7_23 Depth=2
	s_or_b32 exec_lo, exec_lo, s0
	s_mov_b32 s0, -1
	s_and_saveexec_b32 s17, vcc_lo
	s_cbranch_execz .LBB7_22
	s_branch .LBB7_28
.LBB7_26:                               ;   in Loop: Header=BB7_23 Depth=2
	v_min_i32_e32 v13, v25, v13
                                        ; implicit-def: $vgpr24
	s_and_not1_saveexec_b32 s0, s0
	s_cbranch_execz .LBB7_25
.LBB7_27:                               ;   in Loop: Header=BB7_23 Depth=2
	v_add_nc_u32_e32 v24, v18, v24
	ds_store_b8 v24, v23
	s_or_b32 exec_lo, exec_lo, s0
	s_mov_b32 s0, -1
	s_and_saveexec_b32 s17, vcc_lo
	s_cbranch_execz .LBB7_22
.LBB7_28:                               ;   in Loop: Header=BB7_23 Depth=2
	v_add_nc_u64_e32 v[8:9], 32, v[8:9]
	v_add_nc_u64_e32 v[14:15], 0x80, v[14:15]
	s_delay_alu instid0(VALU_DEP_2)
	v_cmp_ge_i64_e32 vcc_lo, v[8:9], v[4:5]
	s_or_not1_b32 s0, vcc_lo, exec_lo
	s_branch .LBB7_22
.LBB7_29:
	s_or_b32 exec_lo, exec_lo, s1
	v_cmp_eq_u32_e32 vcc_lo, 31, v0
	s_and_b32 exec_lo, exec_lo, vcc_lo
	s_cbranch_execz .LBB7_31
; %bb.30:
	s_wait_kmcnt 0x0
	global_store_b64 v10, v[14:15], s[10:11] scale_offset
.LBB7_31:
	s_endpgm
	.section	.rodata,"a",@progbits
	.p2align	6, 0x0
	.amdhsa_kernel _ZN9rocsparseL28csrgeam_nnz_multipass_deviceILj256ELj32ElilEEvllPKT1_PKT2_S3_S6_PT3_21rocsparse_index_base_S9_
		.amdhsa_group_segment_fixed_size 256
		.amdhsa_private_segment_fixed_size 0
		.amdhsa_kernarg_size 64
		.amdhsa_user_sgpr_count 2
		.amdhsa_user_sgpr_dispatch_ptr 0
		.amdhsa_user_sgpr_queue_ptr 0
		.amdhsa_user_sgpr_kernarg_segment_ptr 1
		.amdhsa_user_sgpr_dispatch_id 0
		.amdhsa_user_sgpr_kernarg_preload_length 0
		.amdhsa_user_sgpr_kernarg_preload_offset 0
		.amdhsa_user_sgpr_private_segment_size 0
		.amdhsa_wavefront_size32 1
		.amdhsa_uses_dynamic_stack 0
		.amdhsa_enable_private_segment 0
		.amdhsa_system_sgpr_workgroup_id_x 1
		.amdhsa_system_sgpr_workgroup_id_y 0
		.amdhsa_system_sgpr_workgroup_id_z 0
		.amdhsa_system_sgpr_workgroup_info 0
		.amdhsa_system_vgpr_workitem_id 0
		.amdhsa_next_free_vgpr 26
		.amdhsa_next_free_sgpr 18
		.amdhsa_named_barrier_count 0
		.amdhsa_reserve_vcc 1
		.amdhsa_float_round_mode_32 0
		.amdhsa_float_round_mode_16_64 0
		.amdhsa_float_denorm_mode_32 3
		.amdhsa_float_denorm_mode_16_64 3
		.amdhsa_fp16_overflow 0
		.amdhsa_memory_ordered 1
		.amdhsa_forward_progress 1
		.amdhsa_inst_pref_size 10
		.amdhsa_round_robin_scheduling 0
		.amdhsa_exception_fp_ieee_invalid_op 0
		.amdhsa_exception_fp_denorm_src 0
		.amdhsa_exception_fp_ieee_div_zero 0
		.amdhsa_exception_fp_ieee_overflow 0
		.amdhsa_exception_fp_ieee_underflow 0
		.amdhsa_exception_fp_ieee_inexact 0
		.amdhsa_exception_int_div_zero 0
	.end_amdhsa_kernel
	.section	.text._ZN9rocsparseL28csrgeam_nnz_multipass_deviceILj256ELj32ElilEEvllPKT1_PKT2_S3_S6_PT3_21rocsparse_index_base_S9_,"axG",@progbits,_ZN9rocsparseL28csrgeam_nnz_multipass_deviceILj256ELj32ElilEEvllPKT1_PKT2_S3_S6_PT3_21rocsparse_index_base_S9_,comdat
.Lfunc_end7:
	.size	_ZN9rocsparseL28csrgeam_nnz_multipass_deviceILj256ELj32ElilEEvllPKT1_PKT2_S3_S6_PT3_21rocsparse_index_base_S9_, .Lfunc_end7-_ZN9rocsparseL28csrgeam_nnz_multipass_deviceILj256ELj32ElilEEvllPKT1_PKT2_S3_S6_PT3_21rocsparse_index_base_S9_
                                        ; -- End function
	.set _ZN9rocsparseL28csrgeam_nnz_multipass_deviceILj256ELj32ElilEEvllPKT1_PKT2_S3_S6_PT3_21rocsparse_index_base_S9_.num_vgpr, 26
	.set _ZN9rocsparseL28csrgeam_nnz_multipass_deviceILj256ELj32ElilEEvllPKT1_PKT2_S3_S6_PT3_21rocsparse_index_base_S9_.num_agpr, 0
	.set _ZN9rocsparseL28csrgeam_nnz_multipass_deviceILj256ELj32ElilEEvllPKT1_PKT2_S3_S6_PT3_21rocsparse_index_base_S9_.numbered_sgpr, 18
	.set _ZN9rocsparseL28csrgeam_nnz_multipass_deviceILj256ELj32ElilEEvllPKT1_PKT2_S3_S6_PT3_21rocsparse_index_base_S9_.num_named_barrier, 0
	.set _ZN9rocsparseL28csrgeam_nnz_multipass_deviceILj256ELj32ElilEEvllPKT1_PKT2_S3_S6_PT3_21rocsparse_index_base_S9_.private_seg_size, 0
	.set _ZN9rocsparseL28csrgeam_nnz_multipass_deviceILj256ELj32ElilEEvllPKT1_PKT2_S3_S6_PT3_21rocsparse_index_base_S9_.uses_vcc, 1
	.set _ZN9rocsparseL28csrgeam_nnz_multipass_deviceILj256ELj32ElilEEvllPKT1_PKT2_S3_S6_PT3_21rocsparse_index_base_S9_.uses_flat_scratch, 0
	.set _ZN9rocsparseL28csrgeam_nnz_multipass_deviceILj256ELj32ElilEEvllPKT1_PKT2_S3_S6_PT3_21rocsparse_index_base_S9_.has_dyn_sized_stack, 0
	.set _ZN9rocsparseL28csrgeam_nnz_multipass_deviceILj256ELj32ElilEEvllPKT1_PKT2_S3_S6_PT3_21rocsparse_index_base_S9_.has_recursion, 0
	.set _ZN9rocsparseL28csrgeam_nnz_multipass_deviceILj256ELj32ElilEEvllPKT1_PKT2_S3_S6_PT3_21rocsparse_index_base_S9_.has_indirect_call, 0
	.section	.AMDGPU.csdata,"",@progbits
; Kernel info:
; codeLenInByte = 1236
; TotalNumSgprs: 20
; NumVgprs: 26
; ScratchSize: 0
; MemoryBound: 0
; FloatMode: 240
; IeeeMode: 1
; LDSByteSize: 256 bytes/workgroup (compile time only)
; SGPRBlocks: 0
; VGPRBlocks: 1
; NumSGPRsForWavesPerEU: 20
; NumVGPRsForWavesPerEU: 26
; NamedBarCnt: 0
; Occupancy: 16
; WaveLimiterHint : 1
; COMPUTE_PGM_RSRC2:SCRATCH_EN: 0
; COMPUTE_PGM_RSRC2:USER_SGPR: 2
; COMPUTE_PGM_RSRC2:TRAP_HANDLER: 0
; COMPUTE_PGM_RSRC2:TGID_X_EN: 1
; COMPUTE_PGM_RSRC2:TGID_Y_EN: 0
; COMPUTE_PGM_RSRC2:TGID_Z_EN: 0
; COMPUTE_PGM_RSRC2:TIDIG_COMP_CNT: 0
	.section	.text._ZN9rocsparseL28csrgeam_nnz_multipass_deviceILj256ELj64EliiEEvllPKT1_PKT2_S3_S6_PT3_21rocsparse_index_base_S9_,"axG",@progbits,_ZN9rocsparseL28csrgeam_nnz_multipass_deviceILj256ELj64EliiEEvllPKT1_PKT2_S3_S6_PT3_21rocsparse_index_base_S9_,comdat
	.globl	_ZN9rocsparseL28csrgeam_nnz_multipass_deviceILj256ELj64EliiEEvllPKT1_PKT2_S3_S6_PT3_21rocsparse_index_base_S9_ ; -- Begin function _ZN9rocsparseL28csrgeam_nnz_multipass_deviceILj256ELj64EliiEEvllPKT1_PKT2_S3_S6_PT3_21rocsparse_index_base_S9_
	.p2align	8
	.type	_ZN9rocsparseL28csrgeam_nnz_multipass_deviceILj256ELj64EliiEEvllPKT1_PKT2_S3_S6_PT3_21rocsparse_index_base_S9_,@function
_ZN9rocsparseL28csrgeam_nnz_multipass_deviceILj256ELj64EliiEEvllPKT1_PKT2_S3_S6_PT3_21rocsparse_index_base_S9_: ; @_ZN9rocsparseL28csrgeam_nnz_multipass_deviceILj256ELj64EliiEEvllPKT1_PKT2_S3_S6_PT3_21rocsparse_index_base_S9_
; %bb.0:
	s_load_b128 s[4:7], s[0:1], 0x0
	s_bfe_u32 s2, ttmp6, 0x4000c
	s_and_b32 s3, ttmp6, 15
	s_add_co_i32 s2, s2, 1
	s_getreg_b32 s8, hwreg(HW_REG_IB_STS2, 6, 4)
	s_mul_i32 s2, ttmp9, s2
	v_dual_lshrrev_b32 v1, 6, v0 :: v_dual_mov_b32 v11, 0
	s_add_co_i32 s3, s3, s2
	s_cmp_eq_u32 s8, 0
	s_mov_b32 s13, 0
	s_cselect_b32 s2, ttmp9, s3
	s_delay_alu instid0(SALU_CYCLE_1) | instskip(NEXT) | instid1(SALU_CYCLE_1)
	s_lshl_b32 s2, s2, 2
	v_and_or_b32 v10, 0x3fffffc, s2, v1
	s_mov_b32 s2, exec_lo
	s_wait_kmcnt 0x0
	s_delay_alu instid0(VALU_DEP_1)
	v_cmpx_gt_i64_e64 s[4:5], v[10:11]
	s_cbranch_execz .LBB8_31
; %bb.1:
	s_clause 0x1
	s_load_b64 s[4:5], s[0:1], 0x10
	s_load_b64 s[8:9], s[0:1], 0x20
	v_lshlrev_b32_e32 v1, 3, v10
	s_load_b64 s[2:3], s[0:1], 0x38
	s_wait_kmcnt 0x0
	s_clause 0x1
	global_load_b128 v[2:5], v1, s[4:5]
	global_load_b128 v[6:9], v1, s[8:9]
	s_wait_xcnt 0x1
	s_mov_b32 s4, exec_lo
	s_mov_b32 s12, s2
	s_wait_loadcnt 0x1
	s_wait_xcnt 0x0
	v_cmpx_ge_i64_e64 v[2:3], v[4:5]
	s_xor_b32 s4, exec_lo, s4
	s_delay_alu instid0(SALU_CYCLE_1)
	s_or_saveexec_b32 s8, s4
	s_load_b64 s[4:5], s[0:1], 0x18
	v_sub_nc_u64_e64 v[14:15], v[2:3], s[12:13]
	v_mov_b32_e32 v12, s6
	s_xor_b32 exec_lo, exec_lo, s8
	s_cbranch_execz .LBB8_3
; %bb.2:
	s_wait_kmcnt 0x0
	s_delay_alu instid0(VALU_DEP_2)
	v_lshl_add_u64 v[2:3], v[14:15], 2, s[4:5]
	global_load_b32 v1, v[2:3], off
	s_wait_loadcnt 0x0
	v_subrev_nc_u32_e32 v12, s2, v1
.LBB8_3:
	s_or_b32 exec_lo, exec_lo, s8
	v_mov_b32_e32 v11, s6
	s_mov_b32 s15, 0
	s_mov_b32 s14, s3
	s_mov_b32 s8, exec_lo
	s_wait_loadcnt 0x0
	v_cmpx_ge_i64_e64 v[6:7], v[8:9]
	s_xor_b32 s8, exec_lo, s8
; %bb.4:
	v_mov_b32_e32 v11, s6
; %bb.5:
	s_or_saveexec_b32 s16, s8
	s_load_b128 s[8:11], s[0:1], 0x28
	v_sub_nc_u64_e64 v[16:17], v[6:7], s[14:15]
	s_delay_alu instid0(VALU_DEP_2)
	v_mov_b32_e32 v6, v11
	s_xor_b32 exec_lo, exec_lo, s16
	s_cbranch_execz .LBB8_7
; %bb.6:
	s_wait_kmcnt 0x0
	s_delay_alu instid0(VALU_DEP_2)
	v_lshl_add_u64 v[2:3], v[16:17], 2, s[8:9]
	global_load_b32 v1, v[2:3], off
	s_wait_loadcnt 0x0
	v_subrev_nc_u32_e32 v6, s3, v1
.LBB8_7:
	s_or_b32 exec_lo, exec_lo, s16
	v_mbcnt_lo_u32_b32 v13, -1, 0
	v_and_b32_e32 v18, 0xc0, v0
	v_sub_nc_u64_e64 v[2:3], v[4:5], s[12:13]
	v_sub_nc_u64_e64 v[4:5], v[8:9], s[14:15]
	s_delay_alu instid0(VALU_DEP_4)
	v_dual_mov_b32 v24, 1 :: v_dual_bitop2_b32 v7, 32, v13 bitop3:0x54
	v_mov_b32_e32 v1, 0
	s_wait_xcnt 0x0
	s_mov_b32 s1, 0
	s_mov_b32 s12, 0
	v_cmp_gt_i32_e32 vcc_lo, 32, v7
	v_dual_cndmask_b32 v19, v13, v7, vcc_lo :: v_dual_bitop2_b32 v0, 63, v0 bitop3:0x40
	v_min_i32_e32 v12, v6, v12
	s_delay_alu instid0(VALU_DEP_2) | instskip(SKIP_4) | instid1(VALU_DEP_3)
	v_add_nc_u64_e32 v[6:7], v[14:15], v[0:1]
	v_xor_b32_e32 v14, 8, v13
	v_xor_b32_e32 v20, 16, v13
	v_add_nc_u64_e32 v[8:9], v[16:17], v[0:1]
	v_dual_lshlrev_b32 v16, 2, v19 :: v_dual_add_nc_u32 v23, v18, v0
	v_cmp_gt_i32_e32 vcc_lo, 32, v20
	v_cndmask_b32_e32 v15, v13, v20, vcc_lo
	v_cmp_gt_i32_e32 vcc_lo, 32, v14
	v_xor_b32_e32 v20, 1, v13
	v_xor_b32_e32 v19, 2, v13
	v_dual_cndmask_b32 v14, v13, v14, vcc_lo :: v_dual_bitop2_b32 v17, 4, v13 bitop3:0x14
	s_delay_alu instid0(VALU_DEP_1) | instskip(SKIP_1) | instid1(VALU_DEP_4)
	v_cmp_gt_i32_e32 vcc_lo, 32, v17
	v_cndmask_b32_e32 v21, v13, v17, vcc_lo
	v_cmp_gt_i32_e32 vcc_lo, 32, v19
	v_lshlrev_b32_e32 v17, 2, v15
	v_cndmask_b32_e32 v22, v13, v19, vcc_lo
	v_cmp_gt_i32_e32 vcc_lo, 32, v20
	v_dual_lshlrev_b32 v19, 2, v14 :: v_dual_cndmask_b32 v13, v13, v20, vcc_lo
	s_delay_alu instid0(VALU_DEP_3) | instskip(NEXT) | instid1(VALU_DEP_2)
	v_dual_lshlrev_b32 v20, 2, v21 :: v_dual_lshlrev_b32 v21, 2, v22
	v_lshlrev_b32_e32 v22, 2, v13
	s_branch .LBB8_10
.LBB8_8:                                ;   in Loop: Header=BB8_10 Depth=1
	s_or_b32 exec_lo, exec_lo, s14
.LBB8_9:                                ;   in Loop: Header=BB8_10 Depth=1
	s_delay_alu instid0(SALU_CYCLE_1)
	s_or_b32 exec_lo, exec_lo, s13
	s_wait_dscnt 0x0
	ds_load_u8 v14, v23
	ds_bpermute_b32 v12, v16, v13
	s_wait_dscnt 0x1
	v_cmp_ne_u16_e32 vcc_lo, 0, v14
	s_bcnt1_i32_b32 s13, vcc_lo
	s_delay_alu instid0(SALU_CYCLE_1)
	s_add_co_i32 s12, s13, s12
	s_wait_dscnt 0x0
	v_min_i32_e32 v12, v12, v13
	ds_bpermute_b32 v13, v17, v12
	s_wait_dscnt 0x0
	v_min_i32_e32 v12, v13, v12
	ds_bpermute_b32 v13, v19, v12
	;; [unrolled: 3-line block ×5, first 2 shown]
	s_wait_dscnt 0x0
	v_min_i32_e32 v12, v13, v12
	s_delay_alu instid0(VALU_DEP_1) | instskip(NEXT) | instid1(VALU_DEP_1)
	v_ashrrev_i32_e32 v13, 31, v12
	v_cmp_le_i64_e64 s0, s[6:7], v[12:13]
	v_mov_b32_e32 v13, s12
	s_or_b32 s1, s0, s1
	s_delay_alu instid0(SALU_CYCLE_1)
	s_and_not1_b32 exec_lo, exec_lo, s1
	s_cbranch_execz .LBB8_29
.LBB8_10:                               ; =>This Loop Header: Depth=1
                                        ;     Child Loop BB8_13 Depth 2
                                        ;     Child Loop BB8_23 Depth 2
	v_mov_b32_e32 v13, v11
	s_mov_b32 s13, exec_lo
	ds_store_b8 v23, v1
	s_wait_dscnt 0x0
	v_cmpx_lt_i64_e64 v[6:7], v[2:3]
	s_cbranch_execz .LBB8_20
; %bb.11:                               ;   in Loop: Header=BB8_10 Depth=1
	s_wait_kmcnt 0x0
	v_lshl_add_u64 v[14:15], v[6:7], 2, s[4:5]
	v_mov_b32_e32 v13, v11
	s_mov_b32 s14, 0
	s_branch .LBB8_13
.LBB8_12:                               ;   in Loop: Header=BB8_13 Depth=2
	s_or_b32 exec_lo, exec_lo, s15
	s_delay_alu instid0(SALU_CYCLE_1) | instskip(NEXT) | instid1(SALU_CYCLE_1)
	s_and_b32 s0, exec_lo, s0
	s_or_b32 s14, s0, s14
	s_delay_alu instid0(SALU_CYCLE_1)
	s_and_not1_b32 exec_lo, exec_lo, s14
	s_cbranch_execz .LBB8_19
.LBB8_13:                               ;   Parent Loop BB8_10 Depth=1
                                        ; =>  This Inner Loop Header: Depth=2
	global_load_b32 v25, v[14:15], off
	s_wait_loadcnt 0x0
	v_subrev_nc_u32_e32 v26, s2, v25
	s_delay_alu instid0(VALU_DEP_1) | instskip(NEXT) | instid1(VALU_DEP_1)
	v_sub_nc_u32_e32 v25, v26, v12
	v_cmp_lt_u32_e64 s0, 63, v25
	v_cmp_gt_u32_e32 vcc_lo, 64, v25
	s_wait_xcnt 0x0
	s_and_saveexec_b32 s15, s0
	s_delay_alu instid0(SALU_CYCLE_1)
	s_xor_b32 s0, exec_lo, s15
	s_cbranch_execnz .LBB8_16
; %bb.14:                               ;   in Loop: Header=BB8_13 Depth=2
	s_and_not1_saveexec_b32 s0, s0
	s_cbranch_execnz .LBB8_17
.LBB8_15:                               ;   in Loop: Header=BB8_13 Depth=2
	s_or_b32 exec_lo, exec_lo, s0
	s_mov_b32 s0, -1
	s_and_saveexec_b32 s15, vcc_lo
	s_cbranch_execz .LBB8_12
	s_branch .LBB8_18
.LBB8_16:                               ;   in Loop: Header=BB8_13 Depth=2
	v_min_i32_e32 v13, v26, v13
                                        ; implicit-def: $vgpr25
	s_and_not1_saveexec_b32 s0, s0
	s_cbranch_execz .LBB8_15
.LBB8_17:                               ;   in Loop: Header=BB8_13 Depth=2
	v_add_nc_u32_e32 v25, v18, v25
	ds_store_b8 v25, v24
	s_or_b32 exec_lo, exec_lo, s0
	s_mov_b32 s0, -1
	s_and_saveexec_b32 s15, vcc_lo
	s_cbranch_execz .LBB8_12
.LBB8_18:                               ;   in Loop: Header=BB8_13 Depth=2
	v_add_nc_u64_e32 v[6:7], 64, v[6:7]
	v_add_nc_u64_e32 v[14:15], 0x100, v[14:15]
	s_delay_alu instid0(VALU_DEP_2)
	v_cmp_ge_i64_e32 vcc_lo, v[6:7], v[2:3]
	s_or_not1_b32 s0, vcc_lo, exec_lo
	s_branch .LBB8_12
.LBB8_19:                               ;   in Loop: Header=BB8_10 Depth=1
	s_or_b32 exec_lo, exec_lo, s14
.LBB8_20:                               ;   in Loop: Header=BB8_10 Depth=1
	s_delay_alu instid0(SALU_CYCLE_1) | instskip(NEXT) | instid1(SALU_CYCLE_1)
	s_or_b32 exec_lo, exec_lo, s13
	s_mov_b32 s13, exec_lo
	v_cmpx_lt_i64_e64 v[8:9], v[4:5]
	s_cbranch_execz .LBB8_9
; %bb.21:                               ;   in Loop: Header=BB8_10 Depth=1
	s_wait_kmcnt 0x0
	v_lshl_add_u64 v[14:15], v[8:9], 2, s[8:9]
	s_mov_b32 s14, 0
	s_branch .LBB8_23
.LBB8_22:                               ;   in Loop: Header=BB8_23 Depth=2
	s_or_b32 exec_lo, exec_lo, s15
	s_delay_alu instid0(SALU_CYCLE_1) | instskip(NEXT) | instid1(SALU_CYCLE_1)
	s_and_b32 s0, exec_lo, s0
	s_or_b32 s14, s0, s14
	s_delay_alu instid0(SALU_CYCLE_1)
	s_and_not1_b32 exec_lo, exec_lo, s14
	s_cbranch_execz .LBB8_8
.LBB8_23:                               ;   Parent Loop BB8_10 Depth=1
                                        ; =>  This Inner Loop Header: Depth=2
	global_load_b32 v25, v[14:15], off
	s_wait_loadcnt 0x0
	v_subrev_nc_u32_e32 v26, s3, v25
	s_delay_alu instid0(VALU_DEP_1) | instskip(NEXT) | instid1(VALU_DEP_1)
	v_sub_nc_u32_e32 v25, v26, v12
	v_cmp_lt_u32_e64 s0, 63, v25
	v_cmp_gt_u32_e32 vcc_lo, 64, v25
	s_and_saveexec_b32 s15, s0
	s_delay_alu instid0(SALU_CYCLE_1)
	s_xor_b32 s0, exec_lo, s15
	s_cbranch_execnz .LBB8_26
; %bb.24:                               ;   in Loop: Header=BB8_23 Depth=2
	s_and_not1_saveexec_b32 s0, s0
	s_cbranch_execnz .LBB8_27
.LBB8_25:                               ;   in Loop: Header=BB8_23 Depth=2
	s_or_b32 exec_lo, exec_lo, s0
	s_mov_b32 s0, -1
	s_and_saveexec_b32 s15, vcc_lo
	s_cbranch_execz .LBB8_22
	s_branch .LBB8_28
.LBB8_26:                               ;   in Loop: Header=BB8_23 Depth=2
	v_min_i32_e32 v13, v26, v13
                                        ; implicit-def: $vgpr25
	s_and_not1_saveexec_b32 s0, s0
	s_cbranch_execz .LBB8_25
.LBB8_27:                               ;   in Loop: Header=BB8_23 Depth=2
	v_add_nc_u32_e32 v25, v18, v25
	ds_store_b8 v25, v24
	s_or_b32 exec_lo, exec_lo, s0
	s_mov_b32 s0, -1
	s_and_saveexec_b32 s15, vcc_lo
	s_cbranch_execz .LBB8_22
.LBB8_28:                               ;   in Loop: Header=BB8_23 Depth=2
	v_add_nc_u64_e32 v[8:9], 64, v[8:9]
	v_add_nc_u64_e32 v[14:15], 0x100, v[14:15]
	s_delay_alu instid0(VALU_DEP_2)
	v_cmp_ge_i64_e32 vcc_lo, v[8:9], v[4:5]
	s_or_not1_b32 s0, vcc_lo, exec_lo
	s_branch .LBB8_22
.LBB8_29:
	s_or_b32 exec_lo, exec_lo, s1
	v_cmp_eq_u32_e32 vcc_lo, 63, v0
	s_and_b32 exec_lo, exec_lo, vcc_lo
	s_cbranch_execz .LBB8_31
; %bb.30:
	s_wait_kmcnt 0x0
	global_store_b32 v10, v13, s[10:11] scale_offset
.LBB8_31:
	s_endpgm
	.section	.rodata,"a",@progbits
	.p2align	6, 0x0
	.amdhsa_kernel _ZN9rocsparseL28csrgeam_nnz_multipass_deviceILj256ELj64EliiEEvllPKT1_PKT2_S3_S6_PT3_21rocsparse_index_base_S9_
		.amdhsa_group_segment_fixed_size 256
		.amdhsa_private_segment_fixed_size 0
		.amdhsa_kernarg_size 64
		.amdhsa_user_sgpr_count 2
		.amdhsa_user_sgpr_dispatch_ptr 0
		.amdhsa_user_sgpr_queue_ptr 0
		.amdhsa_user_sgpr_kernarg_segment_ptr 1
		.amdhsa_user_sgpr_dispatch_id 0
		.amdhsa_user_sgpr_kernarg_preload_length 0
		.amdhsa_user_sgpr_kernarg_preload_offset 0
		.amdhsa_user_sgpr_private_segment_size 0
		.amdhsa_wavefront_size32 1
		.amdhsa_uses_dynamic_stack 0
		.amdhsa_enable_private_segment 0
		.amdhsa_system_sgpr_workgroup_id_x 1
		.amdhsa_system_sgpr_workgroup_id_y 0
		.amdhsa_system_sgpr_workgroup_id_z 0
		.amdhsa_system_sgpr_workgroup_info 0
		.amdhsa_system_vgpr_workitem_id 0
		.amdhsa_next_free_vgpr 27
		.amdhsa_next_free_sgpr 17
		.amdhsa_named_barrier_count 0
		.amdhsa_reserve_vcc 1
		.amdhsa_float_round_mode_32 0
		.amdhsa_float_round_mode_16_64 0
		.amdhsa_float_denorm_mode_32 3
		.amdhsa_float_denorm_mode_16_64 3
		.amdhsa_fp16_overflow 0
		.amdhsa_memory_ordered 1
		.amdhsa_forward_progress 1
		.amdhsa_inst_pref_size 10
		.amdhsa_round_robin_scheduling 0
		.amdhsa_exception_fp_ieee_invalid_op 0
		.amdhsa_exception_fp_denorm_src 0
		.amdhsa_exception_fp_ieee_div_zero 0
		.amdhsa_exception_fp_ieee_overflow 0
		.amdhsa_exception_fp_ieee_underflow 0
		.amdhsa_exception_fp_ieee_inexact 0
		.amdhsa_exception_int_div_zero 0
	.end_amdhsa_kernel
	.section	.text._ZN9rocsparseL28csrgeam_nnz_multipass_deviceILj256ELj64EliiEEvllPKT1_PKT2_S3_S6_PT3_21rocsparse_index_base_S9_,"axG",@progbits,_ZN9rocsparseL28csrgeam_nnz_multipass_deviceILj256ELj64EliiEEvllPKT1_PKT2_S3_S6_PT3_21rocsparse_index_base_S9_,comdat
.Lfunc_end8:
	.size	_ZN9rocsparseL28csrgeam_nnz_multipass_deviceILj256ELj64EliiEEvllPKT1_PKT2_S3_S6_PT3_21rocsparse_index_base_S9_, .Lfunc_end8-_ZN9rocsparseL28csrgeam_nnz_multipass_deviceILj256ELj64EliiEEvllPKT1_PKT2_S3_S6_PT3_21rocsparse_index_base_S9_
                                        ; -- End function
	.set _ZN9rocsparseL28csrgeam_nnz_multipass_deviceILj256ELj64EliiEEvllPKT1_PKT2_S3_S6_PT3_21rocsparse_index_base_S9_.num_vgpr, 27
	.set _ZN9rocsparseL28csrgeam_nnz_multipass_deviceILj256ELj64EliiEEvllPKT1_PKT2_S3_S6_PT3_21rocsparse_index_base_S9_.num_agpr, 0
	.set _ZN9rocsparseL28csrgeam_nnz_multipass_deviceILj256ELj64EliiEEvllPKT1_PKT2_S3_S6_PT3_21rocsparse_index_base_S9_.numbered_sgpr, 17
	.set _ZN9rocsparseL28csrgeam_nnz_multipass_deviceILj256ELj64EliiEEvllPKT1_PKT2_S3_S6_PT3_21rocsparse_index_base_S9_.num_named_barrier, 0
	.set _ZN9rocsparseL28csrgeam_nnz_multipass_deviceILj256ELj64EliiEEvllPKT1_PKT2_S3_S6_PT3_21rocsparse_index_base_S9_.private_seg_size, 0
	.set _ZN9rocsparseL28csrgeam_nnz_multipass_deviceILj256ELj64EliiEEvllPKT1_PKT2_S3_S6_PT3_21rocsparse_index_base_S9_.uses_vcc, 1
	.set _ZN9rocsparseL28csrgeam_nnz_multipass_deviceILj256ELj64EliiEEvllPKT1_PKT2_S3_S6_PT3_21rocsparse_index_base_S9_.uses_flat_scratch, 0
	.set _ZN9rocsparseL28csrgeam_nnz_multipass_deviceILj256ELj64EliiEEvllPKT1_PKT2_S3_S6_PT3_21rocsparse_index_base_S9_.has_dyn_sized_stack, 0
	.set _ZN9rocsparseL28csrgeam_nnz_multipass_deviceILj256ELj64EliiEEvllPKT1_PKT2_S3_S6_PT3_21rocsparse_index_base_S9_.has_recursion, 0
	.set _ZN9rocsparseL28csrgeam_nnz_multipass_deviceILj256ELj64EliiEEvllPKT1_PKT2_S3_S6_PT3_21rocsparse_index_base_S9_.has_indirect_call, 0
	.section	.AMDGPU.csdata,"",@progbits
; Kernel info:
; codeLenInByte = 1280
; TotalNumSgprs: 19
; NumVgprs: 27
; ScratchSize: 0
; MemoryBound: 0
; FloatMode: 240
; IeeeMode: 1
; LDSByteSize: 256 bytes/workgroup (compile time only)
; SGPRBlocks: 0
; VGPRBlocks: 1
; NumSGPRsForWavesPerEU: 19
; NumVGPRsForWavesPerEU: 27
; NamedBarCnt: 0
; Occupancy: 16
; WaveLimiterHint : 1
; COMPUTE_PGM_RSRC2:SCRATCH_EN: 0
; COMPUTE_PGM_RSRC2:USER_SGPR: 2
; COMPUTE_PGM_RSRC2:TRAP_HANDLER: 0
; COMPUTE_PGM_RSRC2:TGID_X_EN: 1
; COMPUTE_PGM_RSRC2:TGID_Y_EN: 0
; COMPUTE_PGM_RSRC2:TGID_Z_EN: 0
; COMPUTE_PGM_RSRC2:TIDIG_COMP_CNT: 0
	.section	.text._ZN9rocsparseL28csrgeam_nnz_multipass_deviceILj256ELj64ElilEEvllPKT1_PKT2_S3_S6_PT3_21rocsparse_index_base_S9_,"axG",@progbits,_ZN9rocsparseL28csrgeam_nnz_multipass_deviceILj256ELj64ElilEEvllPKT1_PKT2_S3_S6_PT3_21rocsparse_index_base_S9_,comdat
	.globl	_ZN9rocsparseL28csrgeam_nnz_multipass_deviceILj256ELj64ElilEEvllPKT1_PKT2_S3_S6_PT3_21rocsparse_index_base_S9_ ; -- Begin function _ZN9rocsparseL28csrgeam_nnz_multipass_deviceILj256ELj64ElilEEvllPKT1_PKT2_S3_S6_PT3_21rocsparse_index_base_S9_
	.p2align	8
	.type	_ZN9rocsparseL28csrgeam_nnz_multipass_deviceILj256ELj64ElilEEvllPKT1_PKT2_S3_S6_PT3_21rocsparse_index_base_S9_,@function
_ZN9rocsparseL28csrgeam_nnz_multipass_deviceILj256ELj64ElilEEvllPKT1_PKT2_S3_S6_PT3_21rocsparse_index_base_S9_: ; @_ZN9rocsparseL28csrgeam_nnz_multipass_deviceILj256ELj64ElilEEvllPKT1_PKT2_S3_S6_PT3_21rocsparse_index_base_S9_
; %bb.0:
	s_load_b128 s[4:7], s[0:1], 0x0
	s_bfe_u32 s2, ttmp6, 0x4000c
	s_and_b32 s3, ttmp6, 15
	s_add_co_i32 s2, s2, 1
	s_getreg_b32 s8, hwreg(HW_REG_IB_STS2, 6, 4)
	s_mul_i32 s2, ttmp9, s2
	v_dual_lshrrev_b32 v1, 6, v0 :: v_dual_mov_b32 v11, 0
	s_add_co_i32 s3, s3, s2
	s_cmp_eq_u32 s8, 0
	s_mov_b32 s13, 0
	s_cselect_b32 s2, ttmp9, s3
	s_delay_alu instid0(SALU_CYCLE_1) | instskip(NEXT) | instid1(SALU_CYCLE_1)
	s_lshl_b32 s2, s2, 2
	v_and_or_b32 v10, 0x3fffffc, s2, v1
	s_mov_b32 s2, exec_lo
	s_wait_kmcnt 0x0
	s_delay_alu instid0(VALU_DEP_1)
	v_cmpx_gt_i64_e64 s[4:5], v[10:11]
	s_cbranch_execz .LBB9_31
; %bb.1:
	s_clause 0x1
	s_load_b64 s[4:5], s[0:1], 0x10
	s_load_b64 s[8:9], s[0:1], 0x20
	v_lshlrev_b32_e32 v1, 3, v10
	s_load_b64 s[2:3], s[0:1], 0x38
	s_wait_kmcnt 0x0
	s_clause 0x1
	global_load_b128 v[2:5], v1, s[4:5]
	global_load_b128 v[6:9], v1, s[8:9]
	s_wait_xcnt 0x1
	s_mov_b32 s4, exec_lo
	s_mov_b32 s12, s2
	s_wait_loadcnt 0x1
	s_wait_xcnt 0x0
	v_cmpx_ge_i64_e64 v[2:3], v[4:5]
	s_xor_b32 s4, exec_lo, s4
	s_delay_alu instid0(SALU_CYCLE_1)
	s_or_saveexec_b32 s8, s4
	s_load_b64 s[4:5], s[0:1], 0x18
	v_sub_nc_u64_e64 v[14:15], v[2:3], s[12:13]
	v_mov_b32_e32 v12, s6
	s_xor_b32 exec_lo, exec_lo, s8
	s_cbranch_execz .LBB9_3
; %bb.2:
	s_wait_kmcnt 0x0
	s_delay_alu instid0(VALU_DEP_2)
	v_lshl_add_u64 v[2:3], v[14:15], 2, s[4:5]
	global_load_b32 v1, v[2:3], off
	s_wait_loadcnt 0x0
	v_subrev_nc_u32_e32 v12, s2, v1
.LBB9_3:
	s_or_b32 exec_lo, exec_lo, s8
	v_mov_b32_e32 v11, s6
	s_mov_b32 s15, 0
	s_mov_b32 s14, s3
	s_mov_b32 s8, exec_lo
	s_wait_loadcnt 0x0
	v_cmpx_ge_i64_e64 v[6:7], v[8:9]
	s_xor_b32 s8, exec_lo, s8
; %bb.4:
	v_mov_b32_e32 v11, s6
; %bb.5:
	s_or_saveexec_b32 s16, s8
	s_load_b128 s[8:11], s[0:1], 0x28
	v_sub_nc_u64_e64 v[16:17], v[6:7], s[14:15]
	s_delay_alu instid0(VALU_DEP_2)
	v_mov_b32_e32 v6, v11
	s_xor_b32 exec_lo, exec_lo, s16
	s_cbranch_execz .LBB9_7
; %bb.6:
	s_wait_kmcnt 0x0
	s_delay_alu instid0(VALU_DEP_2)
	v_lshl_add_u64 v[2:3], v[16:17], 2, s[8:9]
	global_load_b32 v1, v[2:3], off
	s_wait_loadcnt 0x0
	v_subrev_nc_u32_e32 v6, s3, v1
.LBB9_7:
	s_or_b32 exec_lo, exec_lo, s16
	v_mbcnt_lo_u32_b32 v13, -1, 0
	v_and_b32_e32 v18, 0xc0, v0
	v_sub_nc_u64_e64 v[2:3], v[4:5], s[12:13]
	v_sub_nc_u64_e64 v[4:5], v[8:9], s[14:15]
	s_delay_alu instid0(VALU_DEP_4)
	v_dual_mov_b32 v24, 1 :: v_dual_bitop2_b32 v7, 32, v13 bitop3:0x54
	v_mov_b32_e32 v1, 0
	s_mov_b64 s[14:15], 0
	s_wait_xcnt 0x0
	s_mov_b32 s1, 0
	v_cmp_gt_i32_e32 vcc_lo, 32, v7
	v_dual_cndmask_b32 v19, v13, v7, vcc_lo :: v_dual_bitop2_b32 v0, 63, v0 bitop3:0x40
	v_min_i32_e32 v12, v6, v12
	s_delay_alu instid0(VALU_DEP_2) | instskip(SKIP_4) | instid1(VALU_DEP_3)
	v_add_nc_u64_e32 v[6:7], v[14:15], v[0:1]
	v_xor_b32_e32 v14, 8, v13
	v_xor_b32_e32 v20, 16, v13
	v_add_nc_u64_e32 v[8:9], v[16:17], v[0:1]
	v_dual_lshlrev_b32 v16, 2, v19 :: v_dual_add_nc_u32 v23, v18, v0
	v_cmp_gt_i32_e32 vcc_lo, 32, v20
	v_cndmask_b32_e32 v15, v13, v20, vcc_lo
	v_cmp_gt_i32_e32 vcc_lo, 32, v14
	v_xor_b32_e32 v20, 1, v13
	v_xor_b32_e32 v19, 2, v13
	v_dual_cndmask_b32 v14, v13, v14, vcc_lo :: v_dual_bitop2_b32 v17, 4, v13 bitop3:0x14
	s_delay_alu instid0(VALU_DEP_1) | instskip(SKIP_1) | instid1(VALU_DEP_4)
	v_cmp_gt_i32_e32 vcc_lo, 32, v17
	v_cndmask_b32_e32 v21, v13, v17, vcc_lo
	v_cmp_gt_i32_e32 vcc_lo, 32, v19
	v_lshlrev_b32_e32 v17, 2, v15
	v_cndmask_b32_e32 v22, v13, v19, vcc_lo
	v_cmp_gt_i32_e32 vcc_lo, 32, v20
	v_dual_lshlrev_b32 v19, 2, v14 :: v_dual_cndmask_b32 v13, v13, v20, vcc_lo
	s_delay_alu instid0(VALU_DEP_3) | instskip(NEXT) | instid1(VALU_DEP_2)
	v_dual_lshlrev_b32 v20, 2, v21 :: v_dual_lshlrev_b32 v21, 2, v22
	v_lshlrev_b32_e32 v22, 2, v13
	s_branch .LBB9_10
.LBB9_8:                                ;   in Loop: Header=BB9_10 Depth=1
	s_or_b32 exec_lo, exec_lo, s16
.LBB9_9:                                ;   in Loop: Header=BB9_10 Depth=1
	s_delay_alu instid0(SALU_CYCLE_1)
	s_or_b32 exec_lo, exec_lo, s12
	ds_bpermute_b32 v12, v16, v13
	s_wait_dscnt 0x0
	ds_load_u8 v14, v23
	v_min_i32_e32 v12, v12, v13
	s_wait_dscnt 0x0
	v_cmp_ne_u16_e32 vcc_lo, 0, v14
	ds_bpermute_b32 v13, v17, v12
	s_bcnt1_i32_b32 s12, vcc_lo
	s_delay_alu instid0(SALU_CYCLE_1) | instskip(NEXT) | instid1(SALU_CYCLE_1)
	s_add_nc_u64 s[14:15], s[14:15], s[12:13]
	v_mov_b64_e32 v[14:15], s[14:15]
	s_wait_dscnt 0x0
	v_min_i32_e32 v12, v13, v12
	ds_bpermute_b32 v13, v19, v12
	s_wait_dscnt 0x0
	v_min_i32_e32 v12, v13, v12
	ds_bpermute_b32 v13, v20, v12
	;; [unrolled: 3-line block ×4, first 2 shown]
	s_wait_dscnt 0x0
	v_min_i32_e32 v12, v13, v12
	s_delay_alu instid0(VALU_DEP_1) | instskip(NEXT) | instid1(VALU_DEP_1)
	v_ashrrev_i32_e32 v13, 31, v12
	v_cmp_le_i64_e64 s0, s[6:7], v[12:13]
	s_or_b32 s1, s0, s1
	s_delay_alu instid0(SALU_CYCLE_1)
	s_and_not1_b32 exec_lo, exec_lo, s1
	s_cbranch_execz .LBB9_29
.LBB9_10:                               ; =>This Loop Header: Depth=1
                                        ;     Child Loop BB9_13 Depth 2
                                        ;     Child Loop BB9_23 Depth 2
	v_mov_b32_e32 v13, v11
	s_mov_b32 s12, exec_lo
	ds_store_b8 v23, v1
	s_wait_dscnt 0x0
	v_cmpx_lt_i64_e64 v[6:7], v[2:3]
	s_cbranch_execz .LBB9_20
; %bb.11:                               ;   in Loop: Header=BB9_10 Depth=1
	s_wait_kmcnt 0x0
	v_lshl_add_u64 v[14:15], v[6:7], 2, s[4:5]
	v_mov_b32_e32 v13, v11
	s_mov_b32 s16, 0
	s_branch .LBB9_13
.LBB9_12:                               ;   in Loop: Header=BB9_13 Depth=2
	s_or_b32 exec_lo, exec_lo, s17
	s_delay_alu instid0(SALU_CYCLE_1) | instskip(NEXT) | instid1(SALU_CYCLE_1)
	s_and_b32 s0, exec_lo, s0
	s_or_b32 s16, s0, s16
	s_delay_alu instid0(SALU_CYCLE_1)
	s_and_not1_b32 exec_lo, exec_lo, s16
	s_cbranch_execz .LBB9_19
.LBB9_13:                               ;   Parent Loop BB9_10 Depth=1
                                        ; =>  This Inner Loop Header: Depth=2
	global_load_b32 v25, v[14:15], off
	s_wait_loadcnt 0x0
	v_subrev_nc_u32_e32 v26, s2, v25
	s_delay_alu instid0(VALU_DEP_1) | instskip(NEXT) | instid1(VALU_DEP_1)
	v_sub_nc_u32_e32 v25, v26, v12
	v_cmp_lt_u32_e64 s0, 63, v25
	v_cmp_gt_u32_e32 vcc_lo, 64, v25
	s_wait_xcnt 0x0
	s_and_saveexec_b32 s17, s0
	s_delay_alu instid0(SALU_CYCLE_1)
	s_xor_b32 s0, exec_lo, s17
	s_cbranch_execnz .LBB9_16
; %bb.14:                               ;   in Loop: Header=BB9_13 Depth=2
	s_and_not1_saveexec_b32 s0, s0
	s_cbranch_execnz .LBB9_17
.LBB9_15:                               ;   in Loop: Header=BB9_13 Depth=2
	s_or_b32 exec_lo, exec_lo, s0
	s_mov_b32 s0, -1
	s_and_saveexec_b32 s17, vcc_lo
	s_cbranch_execz .LBB9_12
	s_branch .LBB9_18
.LBB9_16:                               ;   in Loop: Header=BB9_13 Depth=2
	v_min_i32_e32 v13, v26, v13
                                        ; implicit-def: $vgpr25
	s_and_not1_saveexec_b32 s0, s0
	s_cbranch_execz .LBB9_15
.LBB9_17:                               ;   in Loop: Header=BB9_13 Depth=2
	v_add_nc_u32_e32 v25, v18, v25
	ds_store_b8 v25, v24
	s_or_b32 exec_lo, exec_lo, s0
	s_mov_b32 s0, -1
	s_and_saveexec_b32 s17, vcc_lo
	s_cbranch_execz .LBB9_12
.LBB9_18:                               ;   in Loop: Header=BB9_13 Depth=2
	v_add_nc_u64_e32 v[6:7], 64, v[6:7]
	v_add_nc_u64_e32 v[14:15], 0x100, v[14:15]
	s_delay_alu instid0(VALU_DEP_2)
	v_cmp_ge_i64_e32 vcc_lo, v[6:7], v[2:3]
	s_or_not1_b32 s0, vcc_lo, exec_lo
	s_branch .LBB9_12
.LBB9_19:                               ;   in Loop: Header=BB9_10 Depth=1
	s_or_b32 exec_lo, exec_lo, s16
.LBB9_20:                               ;   in Loop: Header=BB9_10 Depth=1
	s_delay_alu instid0(SALU_CYCLE_1) | instskip(NEXT) | instid1(SALU_CYCLE_1)
	s_or_b32 exec_lo, exec_lo, s12
	s_mov_b32 s12, exec_lo
	v_cmpx_lt_i64_e64 v[8:9], v[4:5]
	s_cbranch_execz .LBB9_9
; %bb.21:                               ;   in Loop: Header=BB9_10 Depth=1
	s_wait_kmcnt 0x0
	v_lshl_add_u64 v[14:15], v[8:9], 2, s[8:9]
	s_mov_b32 s16, 0
	s_branch .LBB9_23
.LBB9_22:                               ;   in Loop: Header=BB9_23 Depth=2
	s_or_b32 exec_lo, exec_lo, s17
	s_delay_alu instid0(SALU_CYCLE_1) | instskip(NEXT) | instid1(SALU_CYCLE_1)
	s_and_b32 s0, exec_lo, s0
	s_or_b32 s16, s0, s16
	s_delay_alu instid0(SALU_CYCLE_1)
	s_and_not1_b32 exec_lo, exec_lo, s16
	s_cbranch_execz .LBB9_8
.LBB9_23:                               ;   Parent Loop BB9_10 Depth=1
                                        ; =>  This Inner Loop Header: Depth=2
	global_load_b32 v25, v[14:15], off
	s_wait_loadcnt 0x0
	v_subrev_nc_u32_e32 v26, s3, v25
	s_delay_alu instid0(VALU_DEP_1) | instskip(NEXT) | instid1(VALU_DEP_1)
	v_sub_nc_u32_e32 v25, v26, v12
	v_cmp_lt_u32_e64 s0, 63, v25
	v_cmp_gt_u32_e32 vcc_lo, 64, v25
	s_and_saveexec_b32 s17, s0
	s_delay_alu instid0(SALU_CYCLE_1)
	s_xor_b32 s0, exec_lo, s17
	s_cbranch_execnz .LBB9_26
; %bb.24:                               ;   in Loop: Header=BB9_23 Depth=2
	s_and_not1_saveexec_b32 s0, s0
	s_cbranch_execnz .LBB9_27
.LBB9_25:                               ;   in Loop: Header=BB9_23 Depth=2
	s_or_b32 exec_lo, exec_lo, s0
	s_mov_b32 s0, -1
	s_and_saveexec_b32 s17, vcc_lo
	s_cbranch_execz .LBB9_22
	s_branch .LBB9_28
.LBB9_26:                               ;   in Loop: Header=BB9_23 Depth=2
	v_min_i32_e32 v13, v26, v13
                                        ; implicit-def: $vgpr25
	s_and_not1_saveexec_b32 s0, s0
	s_cbranch_execz .LBB9_25
.LBB9_27:                               ;   in Loop: Header=BB9_23 Depth=2
	v_add_nc_u32_e32 v25, v18, v25
	ds_store_b8 v25, v24
	s_or_b32 exec_lo, exec_lo, s0
	s_mov_b32 s0, -1
	s_and_saveexec_b32 s17, vcc_lo
	s_cbranch_execz .LBB9_22
.LBB9_28:                               ;   in Loop: Header=BB9_23 Depth=2
	v_add_nc_u64_e32 v[8:9], 64, v[8:9]
	v_add_nc_u64_e32 v[14:15], 0x100, v[14:15]
	s_delay_alu instid0(VALU_DEP_2)
	v_cmp_ge_i64_e32 vcc_lo, v[8:9], v[4:5]
	s_or_not1_b32 s0, vcc_lo, exec_lo
	s_branch .LBB9_22
.LBB9_29:
	s_or_b32 exec_lo, exec_lo, s1
	v_cmp_eq_u32_e32 vcc_lo, 63, v0
	s_and_b32 exec_lo, exec_lo, vcc_lo
	s_cbranch_execz .LBB9_31
; %bb.30:
	s_wait_kmcnt 0x0
	global_store_b64 v10, v[14:15], s[10:11] scale_offset
.LBB9_31:
	s_endpgm
	.section	.rodata,"a",@progbits
	.p2align	6, 0x0
	.amdhsa_kernel _ZN9rocsparseL28csrgeam_nnz_multipass_deviceILj256ELj64ElilEEvllPKT1_PKT2_S3_S6_PT3_21rocsparse_index_base_S9_
		.amdhsa_group_segment_fixed_size 256
		.amdhsa_private_segment_fixed_size 0
		.amdhsa_kernarg_size 64
		.amdhsa_user_sgpr_count 2
		.amdhsa_user_sgpr_dispatch_ptr 0
		.amdhsa_user_sgpr_queue_ptr 0
		.amdhsa_user_sgpr_kernarg_segment_ptr 1
		.amdhsa_user_sgpr_dispatch_id 0
		.amdhsa_user_sgpr_kernarg_preload_length 0
		.amdhsa_user_sgpr_kernarg_preload_offset 0
		.amdhsa_user_sgpr_private_segment_size 0
		.amdhsa_wavefront_size32 1
		.amdhsa_uses_dynamic_stack 0
		.amdhsa_enable_private_segment 0
		.amdhsa_system_sgpr_workgroup_id_x 1
		.amdhsa_system_sgpr_workgroup_id_y 0
		.amdhsa_system_sgpr_workgroup_id_z 0
		.amdhsa_system_sgpr_workgroup_info 0
		.amdhsa_system_vgpr_workitem_id 0
		.amdhsa_next_free_vgpr 27
		.amdhsa_next_free_sgpr 18
		.amdhsa_named_barrier_count 0
		.amdhsa_reserve_vcc 1
		.amdhsa_float_round_mode_32 0
		.amdhsa_float_round_mode_16_64 0
		.amdhsa_float_denorm_mode_32 3
		.amdhsa_float_denorm_mode_16_64 3
		.amdhsa_fp16_overflow 0
		.amdhsa_memory_ordered 1
		.amdhsa_forward_progress 1
		.amdhsa_inst_pref_size 10
		.amdhsa_round_robin_scheduling 0
		.amdhsa_exception_fp_ieee_invalid_op 0
		.amdhsa_exception_fp_denorm_src 0
		.amdhsa_exception_fp_ieee_div_zero 0
		.amdhsa_exception_fp_ieee_overflow 0
		.amdhsa_exception_fp_ieee_underflow 0
		.amdhsa_exception_fp_ieee_inexact 0
		.amdhsa_exception_int_div_zero 0
	.end_amdhsa_kernel
	.section	.text._ZN9rocsparseL28csrgeam_nnz_multipass_deviceILj256ELj64ElilEEvllPKT1_PKT2_S3_S6_PT3_21rocsparse_index_base_S9_,"axG",@progbits,_ZN9rocsparseL28csrgeam_nnz_multipass_deviceILj256ELj64ElilEEvllPKT1_PKT2_S3_S6_PT3_21rocsparse_index_base_S9_,comdat
.Lfunc_end9:
	.size	_ZN9rocsparseL28csrgeam_nnz_multipass_deviceILj256ELj64ElilEEvllPKT1_PKT2_S3_S6_PT3_21rocsparse_index_base_S9_, .Lfunc_end9-_ZN9rocsparseL28csrgeam_nnz_multipass_deviceILj256ELj64ElilEEvllPKT1_PKT2_S3_S6_PT3_21rocsparse_index_base_S9_
                                        ; -- End function
	.set _ZN9rocsparseL28csrgeam_nnz_multipass_deviceILj256ELj64ElilEEvllPKT1_PKT2_S3_S6_PT3_21rocsparse_index_base_S9_.num_vgpr, 27
	.set _ZN9rocsparseL28csrgeam_nnz_multipass_deviceILj256ELj64ElilEEvllPKT1_PKT2_S3_S6_PT3_21rocsparse_index_base_S9_.num_agpr, 0
	.set _ZN9rocsparseL28csrgeam_nnz_multipass_deviceILj256ELj64ElilEEvllPKT1_PKT2_S3_S6_PT3_21rocsparse_index_base_S9_.numbered_sgpr, 18
	.set _ZN9rocsparseL28csrgeam_nnz_multipass_deviceILj256ELj64ElilEEvllPKT1_PKT2_S3_S6_PT3_21rocsparse_index_base_S9_.num_named_barrier, 0
	.set _ZN9rocsparseL28csrgeam_nnz_multipass_deviceILj256ELj64ElilEEvllPKT1_PKT2_S3_S6_PT3_21rocsparse_index_base_S9_.private_seg_size, 0
	.set _ZN9rocsparseL28csrgeam_nnz_multipass_deviceILj256ELj64ElilEEvllPKT1_PKT2_S3_S6_PT3_21rocsparse_index_base_S9_.uses_vcc, 1
	.set _ZN9rocsparseL28csrgeam_nnz_multipass_deviceILj256ELj64ElilEEvllPKT1_PKT2_S3_S6_PT3_21rocsparse_index_base_S9_.uses_flat_scratch, 0
	.set _ZN9rocsparseL28csrgeam_nnz_multipass_deviceILj256ELj64ElilEEvllPKT1_PKT2_S3_S6_PT3_21rocsparse_index_base_S9_.has_dyn_sized_stack, 0
	.set _ZN9rocsparseL28csrgeam_nnz_multipass_deviceILj256ELj64ElilEEvllPKT1_PKT2_S3_S6_PT3_21rocsparse_index_base_S9_.has_recursion, 0
	.set _ZN9rocsparseL28csrgeam_nnz_multipass_deviceILj256ELj64ElilEEvllPKT1_PKT2_S3_S6_PT3_21rocsparse_index_base_S9_.has_indirect_call, 0
	.section	.AMDGPU.csdata,"",@progbits
; Kernel info:
; codeLenInByte = 1276
; TotalNumSgprs: 20
; NumVgprs: 27
; ScratchSize: 0
; MemoryBound: 0
; FloatMode: 240
; IeeeMode: 1
; LDSByteSize: 256 bytes/workgroup (compile time only)
; SGPRBlocks: 0
; VGPRBlocks: 1
; NumSGPRsForWavesPerEU: 20
; NumVGPRsForWavesPerEU: 27
; NamedBarCnt: 0
; Occupancy: 16
; WaveLimiterHint : 1
; COMPUTE_PGM_RSRC2:SCRATCH_EN: 0
; COMPUTE_PGM_RSRC2:USER_SGPR: 2
; COMPUTE_PGM_RSRC2:TRAP_HANDLER: 0
; COMPUTE_PGM_RSRC2:TGID_X_EN: 1
; COMPUTE_PGM_RSRC2:TGID_Y_EN: 0
; COMPUTE_PGM_RSRC2:TGID_Z_EN: 0
; COMPUTE_PGM_RSRC2:TIDIG_COMP_CNT: 0
	.section	.text._ZN9rocsparseL21csrgeam_check_row_ptrILj256EllEEvT1_PT0_21rocsparse_index_base_,"axG",@progbits,_ZN9rocsparseL21csrgeam_check_row_ptrILj256EllEEvT1_PT0_21rocsparse_index_base_,comdat
	.globl	_ZN9rocsparseL21csrgeam_check_row_ptrILj256EllEEvT1_PT0_21rocsparse_index_base_ ; -- Begin function _ZN9rocsparseL21csrgeam_check_row_ptrILj256EllEEvT1_PT0_21rocsparse_index_base_
	.p2align	8
	.type	_ZN9rocsparseL21csrgeam_check_row_ptrILj256EllEEvT1_PT0_21rocsparse_index_base_,@function
_ZN9rocsparseL21csrgeam_check_row_ptrILj256EllEEvT1_PT0_21rocsparse_index_base_: ; @_ZN9rocsparseL21csrgeam_check_row_ptrILj256EllEEvT1_PT0_21rocsparse_index_base_
; %bb.0:
	s_load_b64 s[2:3], s[0:1], 0x0
	s_bfe_u32 s4, ttmp6, 0x4000c
	s_and_b32 s5, ttmp6, 15
	s_add_co_i32 s4, s4, 1
	s_getreg_b32 s6, hwreg(HW_REG_IB_STS2, 6, 4)
	s_mul_i32 s4, ttmp9, s4
	v_mov_b32_e32 v1, 0
	s_add_co_i32 s5, s5, s4
	s_cmp_eq_u32 s6, 0
	s_mov_b32 s7, 0
	s_cselect_b32 s4, ttmp9, s5
	s_delay_alu instid0(SALU_CYCLE_1) | instskip(SKIP_2) | instid1(VALU_DEP_1)
	v_lshl_or_b32 v0, s4, 8, v0
	s_mov_b32 s4, exec_lo
	s_wait_kmcnt 0x0
	v_cmpx_ge_i64_e64 s[2:3], v[0:1]
	s_cbranch_execz .LBB10_3
; %bb.1:
	s_load_b96 s[4:6], s[0:1], 0x8
	s_wait_kmcnt 0x0
	v_lshl_add_u64 v[0:1], v[0:1], 3, s[4:5]
	global_load_b64 v[0:1], v[0:1], off
	s_wait_loadcnt 0x0
	v_cmp_gt_i64_e32 vcc_lo, s[6:7], v[0:1]
	s_and_b32 exec_lo, exec_lo, vcc_lo
	s_cbranch_execz .LBB10_3
; %bb.2:
	v_mov_b64_e32 v[0:1], -1
	v_mov_b32_e32 v2, 0
	s_lshl_b64 s[0:1], s[2:3], 3
	s_delay_alu instid0(SALU_CYCLE_1)
	s_add_nc_u64 s[0:1], s[4:5], s[0:1]
	global_store_b64 v2, v[0:1], s[0:1]
.LBB10_3:
	s_endpgm
	.section	.rodata,"a",@progbits
	.p2align	6, 0x0
	.amdhsa_kernel _ZN9rocsparseL21csrgeam_check_row_ptrILj256EllEEvT1_PT0_21rocsparse_index_base_
		.amdhsa_group_segment_fixed_size 0
		.amdhsa_private_segment_fixed_size 0
		.amdhsa_kernarg_size 20
		.amdhsa_user_sgpr_count 2
		.amdhsa_user_sgpr_dispatch_ptr 0
		.amdhsa_user_sgpr_queue_ptr 0
		.amdhsa_user_sgpr_kernarg_segment_ptr 1
		.amdhsa_user_sgpr_dispatch_id 0
		.amdhsa_user_sgpr_kernarg_preload_length 0
		.amdhsa_user_sgpr_kernarg_preload_offset 0
		.amdhsa_user_sgpr_private_segment_size 0
		.amdhsa_wavefront_size32 1
		.amdhsa_uses_dynamic_stack 0
		.amdhsa_enable_private_segment 0
		.amdhsa_system_sgpr_workgroup_id_x 1
		.amdhsa_system_sgpr_workgroup_id_y 0
		.amdhsa_system_sgpr_workgroup_id_z 0
		.amdhsa_system_sgpr_workgroup_info 0
		.amdhsa_system_vgpr_workitem_id 0
		.amdhsa_next_free_vgpr 3
		.amdhsa_next_free_sgpr 8
		.amdhsa_named_barrier_count 0
		.amdhsa_reserve_vcc 1
		.amdhsa_float_round_mode_32 0
		.amdhsa_float_round_mode_16_64 0
		.amdhsa_float_denorm_mode_32 3
		.amdhsa_float_denorm_mode_16_64 3
		.amdhsa_fp16_overflow 0
		.amdhsa_memory_ordered 1
		.amdhsa_forward_progress 1
		.amdhsa_inst_pref_size 2
		.amdhsa_round_robin_scheduling 0
		.amdhsa_exception_fp_ieee_invalid_op 0
		.amdhsa_exception_fp_denorm_src 0
		.amdhsa_exception_fp_ieee_div_zero 0
		.amdhsa_exception_fp_ieee_overflow 0
		.amdhsa_exception_fp_ieee_underflow 0
		.amdhsa_exception_fp_ieee_inexact 0
		.amdhsa_exception_int_div_zero 0
	.end_amdhsa_kernel
	.section	.text._ZN9rocsparseL21csrgeam_check_row_ptrILj256EllEEvT1_PT0_21rocsparse_index_base_,"axG",@progbits,_ZN9rocsparseL21csrgeam_check_row_ptrILj256EllEEvT1_PT0_21rocsparse_index_base_,comdat
.Lfunc_end10:
	.size	_ZN9rocsparseL21csrgeam_check_row_ptrILj256EllEEvT1_PT0_21rocsparse_index_base_, .Lfunc_end10-_ZN9rocsparseL21csrgeam_check_row_ptrILj256EllEEvT1_PT0_21rocsparse_index_base_
                                        ; -- End function
	.set _ZN9rocsparseL21csrgeam_check_row_ptrILj256EllEEvT1_PT0_21rocsparse_index_base_.num_vgpr, 3
	.set _ZN9rocsparseL21csrgeam_check_row_ptrILj256EllEEvT1_PT0_21rocsparse_index_base_.num_agpr, 0
	.set _ZN9rocsparseL21csrgeam_check_row_ptrILj256EllEEvT1_PT0_21rocsparse_index_base_.numbered_sgpr, 8
	.set _ZN9rocsparseL21csrgeam_check_row_ptrILj256EllEEvT1_PT0_21rocsparse_index_base_.num_named_barrier, 0
	.set _ZN9rocsparseL21csrgeam_check_row_ptrILj256EllEEvT1_PT0_21rocsparse_index_base_.private_seg_size, 0
	.set _ZN9rocsparseL21csrgeam_check_row_ptrILj256EllEEvT1_PT0_21rocsparse_index_base_.uses_vcc, 1
	.set _ZN9rocsparseL21csrgeam_check_row_ptrILj256EllEEvT1_PT0_21rocsparse_index_base_.uses_flat_scratch, 0
	.set _ZN9rocsparseL21csrgeam_check_row_ptrILj256EllEEvT1_PT0_21rocsparse_index_base_.has_dyn_sized_stack, 0
	.set _ZN9rocsparseL21csrgeam_check_row_ptrILj256EllEEvT1_PT0_21rocsparse_index_base_.has_recursion, 0
	.set _ZN9rocsparseL21csrgeam_check_row_ptrILj256EllEEvT1_PT0_21rocsparse_index_base_.has_indirect_call, 0
	.section	.AMDGPU.csdata,"",@progbits
; Kernel info:
; codeLenInByte = 168
; TotalNumSgprs: 10
; NumVgprs: 3
; ScratchSize: 0
; MemoryBound: 0
; FloatMode: 240
; IeeeMode: 1
; LDSByteSize: 0 bytes/workgroup (compile time only)
; SGPRBlocks: 0
; VGPRBlocks: 0
; NumSGPRsForWavesPerEU: 10
; NumVGPRsForWavesPerEU: 3
; NamedBarCnt: 0
; Occupancy: 16
; WaveLimiterHint : 0
; COMPUTE_PGM_RSRC2:SCRATCH_EN: 0
; COMPUTE_PGM_RSRC2:USER_SGPR: 2
; COMPUTE_PGM_RSRC2:TRAP_HANDLER: 0
; COMPUTE_PGM_RSRC2:TGID_X_EN: 1
; COMPUTE_PGM_RSRC2:TGID_Y_EN: 0
; COMPUTE_PGM_RSRC2:TGID_Z_EN: 0
; COMPUTE_PGM_RSRC2:TIDIG_COMP_CNT: 0
	.section	.text._ZN9rocsparseL18csrgeam_index_baseILj1ElEEvPT0_,"axG",@progbits,_ZN9rocsparseL18csrgeam_index_baseILj1ElEEvPT0_,comdat
	.globl	_ZN9rocsparseL18csrgeam_index_baseILj1ElEEvPT0_ ; -- Begin function _ZN9rocsparseL18csrgeam_index_baseILj1ElEEvPT0_
	.p2align	8
	.type	_ZN9rocsparseL18csrgeam_index_baseILj1ElEEvPT0_,@function
_ZN9rocsparseL18csrgeam_index_baseILj1ElEEvPT0_: ; @_ZN9rocsparseL18csrgeam_index_baseILj1ElEEvPT0_
; %bb.0:
	s_load_b64 s[0:1], s[0:1], 0x0
	s_wait_kmcnt 0x0
	s_load_b64 s[2:3], s[0:1], 0x0
	s_wait_kmcnt 0x0
	s_cmp_eq_u64 s[2:3], -1
	s_cbranch_scc1 .LBB11_2
; %bb.1:
	s_add_nc_u64 s[2:3], s[2:3], -1
	v_mov_b32_e32 v2, 0
	v_mov_b64_e32 v[0:1], s[2:3]
	global_store_b64 v2, v[0:1], s[0:1]
.LBB11_2:
	s_endpgm
	.section	.rodata,"a",@progbits
	.p2align	6, 0x0
	.amdhsa_kernel _ZN9rocsparseL18csrgeam_index_baseILj1ElEEvPT0_
		.amdhsa_group_segment_fixed_size 0
		.amdhsa_private_segment_fixed_size 0
		.amdhsa_kernarg_size 8
		.amdhsa_user_sgpr_count 2
		.amdhsa_user_sgpr_dispatch_ptr 0
		.amdhsa_user_sgpr_queue_ptr 0
		.amdhsa_user_sgpr_kernarg_segment_ptr 1
		.amdhsa_user_sgpr_dispatch_id 0
		.amdhsa_user_sgpr_kernarg_preload_length 0
		.amdhsa_user_sgpr_kernarg_preload_offset 0
		.amdhsa_user_sgpr_private_segment_size 0
		.amdhsa_wavefront_size32 1
		.amdhsa_uses_dynamic_stack 0
		.amdhsa_enable_private_segment 0
		.amdhsa_system_sgpr_workgroup_id_x 1
		.amdhsa_system_sgpr_workgroup_id_y 0
		.amdhsa_system_sgpr_workgroup_id_z 0
		.amdhsa_system_sgpr_workgroup_info 0
		.amdhsa_system_vgpr_workitem_id 0
		.amdhsa_next_free_vgpr 3
		.amdhsa_next_free_sgpr 4
		.amdhsa_named_barrier_count 0
		.amdhsa_reserve_vcc 0
		.amdhsa_float_round_mode_32 0
		.amdhsa_float_round_mode_16_64 0
		.amdhsa_float_denorm_mode_32 3
		.amdhsa_float_denorm_mode_16_64 3
		.amdhsa_fp16_overflow 0
		.amdhsa_memory_ordered 1
		.amdhsa_forward_progress 1
		.amdhsa_inst_pref_size 1
		.amdhsa_round_robin_scheduling 0
		.amdhsa_exception_fp_ieee_invalid_op 0
		.amdhsa_exception_fp_denorm_src 0
		.amdhsa_exception_fp_ieee_div_zero 0
		.amdhsa_exception_fp_ieee_overflow 0
		.amdhsa_exception_fp_ieee_underflow 0
		.amdhsa_exception_fp_ieee_inexact 0
		.amdhsa_exception_int_div_zero 0
	.end_amdhsa_kernel
	.section	.text._ZN9rocsparseL18csrgeam_index_baseILj1ElEEvPT0_,"axG",@progbits,_ZN9rocsparseL18csrgeam_index_baseILj1ElEEvPT0_,comdat
.Lfunc_end11:
	.size	_ZN9rocsparseL18csrgeam_index_baseILj1ElEEvPT0_, .Lfunc_end11-_ZN9rocsparseL18csrgeam_index_baseILj1ElEEvPT0_
                                        ; -- End function
	.set _ZN9rocsparseL18csrgeam_index_baseILj1ElEEvPT0_.num_vgpr, 3
	.set _ZN9rocsparseL18csrgeam_index_baseILj1ElEEvPT0_.num_agpr, 0
	.set _ZN9rocsparseL18csrgeam_index_baseILj1ElEEvPT0_.numbered_sgpr, 4
	.set _ZN9rocsparseL18csrgeam_index_baseILj1ElEEvPT0_.num_named_barrier, 0
	.set _ZN9rocsparseL18csrgeam_index_baseILj1ElEEvPT0_.private_seg_size, 0
	.set _ZN9rocsparseL18csrgeam_index_baseILj1ElEEvPT0_.uses_vcc, 0
	.set _ZN9rocsparseL18csrgeam_index_baseILj1ElEEvPT0_.uses_flat_scratch, 0
	.set _ZN9rocsparseL18csrgeam_index_baseILj1ElEEvPT0_.has_dyn_sized_stack, 0
	.set _ZN9rocsparseL18csrgeam_index_baseILj1ElEEvPT0_.has_recursion, 0
	.set _ZN9rocsparseL18csrgeam_index_baseILj1ElEEvPT0_.has_indirect_call, 0
	.section	.AMDGPU.csdata,"",@progbits
; Kernel info:
; codeLenInByte = 60
; TotalNumSgprs: 4
; NumVgprs: 3
; ScratchSize: 0
; MemoryBound: 0
; FloatMode: 240
; IeeeMode: 1
; LDSByteSize: 0 bytes/workgroup (compile time only)
; SGPRBlocks: 0
; VGPRBlocks: 0
; NumSGPRsForWavesPerEU: 4
; NumVGPRsForWavesPerEU: 3
; NamedBarCnt: 0
; Occupancy: 16
; WaveLimiterHint : 0
; COMPUTE_PGM_RSRC2:SCRATCH_EN: 0
; COMPUTE_PGM_RSRC2:USER_SGPR: 2
; COMPUTE_PGM_RSRC2:TRAP_HANDLER: 0
; COMPUTE_PGM_RSRC2:TGID_X_EN: 1
; COMPUTE_PGM_RSRC2:TGID_Y_EN: 0
; COMPUTE_PGM_RSRC2:TGID_Z_EN: 0
; COMPUTE_PGM_RSRC2:TIDIG_COMP_CNT: 0
	.section	.text._ZN9rocsparseL28csrgeam_nnz_multipass_deviceILj256ELj32ElliEEvllPKT1_PKT2_S3_S6_PT3_21rocsparse_index_base_S9_,"axG",@progbits,_ZN9rocsparseL28csrgeam_nnz_multipass_deviceILj256ELj32ElliEEvllPKT1_PKT2_S3_S6_PT3_21rocsparse_index_base_S9_,comdat
	.globl	_ZN9rocsparseL28csrgeam_nnz_multipass_deviceILj256ELj32ElliEEvllPKT1_PKT2_S3_S6_PT3_21rocsparse_index_base_S9_ ; -- Begin function _ZN9rocsparseL28csrgeam_nnz_multipass_deviceILj256ELj32ElliEEvllPKT1_PKT2_S3_S6_PT3_21rocsparse_index_base_S9_
	.p2align	8
	.type	_ZN9rocsparseL28csrgeam_nnz_multipass_deviceILj256ELj32ElliEEvllPKT1_PKT2_S3_S6_PT3_21rocsparse_index_base_S9_,@function
_ZN9rocsparseL28csrgeam_nnz_multipass_deviceILj256ELj32ElliEEvllPKT1_PKT2_S3_S6_PT3_21rocsparse_index_base_S9_: ; @_ZN9rocsparseL28csrgeam_nnz_multipass_deviceILj256ELj32ElliEEvllPKT1_PKT2_S3_S6_PT3_21rocsparse_index_base_S9_
; %bb.0:
	s_load_b128 s[4:7], s[0:1], 0x0
	s_bfe_u32 s2, ttmp6, 0x4000c
	s_and_b32 s3, ttmp6, 15
	s_add_co_i32 s2, s2, 1
	s_getreg_b32 s8, hwreg(HW_REG_IB_STS2, 6, 4)
	s_mul_i32 s2, ttmp9, s2
	v_dual_lshrrev_b32 v1, 5, v0 :: v_dual_mov_b32 v11, 0
	s_add_co_i32 s3, s3, s2
	s_cmp_eq_u32 s8, 0
	s_cselect_b32 s2, ttmp9, s3
	s_mov_b32 s3, 0
	s_lshl_b32 s2, s2, 3
	s_delay_alu instid0(SALU_CYCLE_1) | instskip(SKIP_2) | instid1(VALU_DEP_1)
	v_and_or_b32 v10, 0x7fffff8, s2, v1
	s_mov_b32 s2, exec_lo
	s_wait_kmcnt 0x0
	v_cmpx_gt_i64_e64 s[4:5], v[10:11]
	s_cbranch_execz .LBB12_29
; %bb.1:
	s_clause 0x1
	s_load_b128 s[8:11], s[0:1], 0x10
	s_load_b64 s[4:5], s[0:1], 0x20
	v_lshlrev_b32_e32 v1, 3, v10
	v_mov_b64_e32 v[12:13], s[6:7]
	s_wait_kmcnt 0x0
	s_clause 0x1
	global_load_b128 v[2:5], v1, s[8:9]
	global_load_b128 v[6:9], v1, s[4:5]
	s_wait_xcnt 0x1
	s_load_b64 s[8:9], s[0:1], 0x38
	s_mov_b32 s4, exec_lo
	s_wait_kmcnt 0x0
	s_mov_b32 s2, s8
	s_wait_loadcnt 0x1
	v_sub_nc_u64_e64 v[14:15], v[2:3], s[2:3]
	v_cmpx_lt_i64_e64 v[2:3], v[4:5]
	s_cbranch_execz .LBB12_3
; %bb.2:
	s_delay_alu instid0(VALU_DEP_2)
	v_lshl_add_u64 v[2:3], v[14:15], 3, s[10:11]
	global_load_b64 v[2:3], v[2:3], off
	s_wait_loadcnt 0x0
	v_sub_nc_u64_e64 v[12:13], v[2:3], s[2:3]
.LBB12_3:
	s_or_b32 exec_lo, exec_lo, s4
	s_load_b128 s[12:15], s[0:1], 0x28
	s_mov_b32 s5, 0
	s_mov_b32 s4, s9
	s_wait_loadcnt 0x0
	v_cmp_lt_i64_e32 vcc_lo, v[6:7], v[8:9]
	v_sub_nc_u64_e64 v[16:17], v[6:7], s[4:5]
	v_mov_b64_e32 v[6:7], s[6:7]
	s_wait_xcnt 0x0
	s_and_saveexec_b32 s0, vcc_lo
	s_cbranch_execz .LBB12_5
; %bb.4:
	s_wait_kmcnt 0x0
	s_delay_alu instid0(VALU_DEP_2)
	v_lshl_add_u64 v[2:3], v[16:17], 3, s[12:13]
	global_load_b64 v[2:3], v[2:3], off
	s_wait_loadcnt 0x0
	v_sub_nc_u64_e64 v[6:7], v[2:3], s[4:5]
.LBB12_5:
	s_or_b32 exec_lo, exec_lo, s0
	v_dual_mov_b32 v3, 0 :: v_dual_bitop2_b32 v2, 31, v0 bitop3:0x40
	v_mbcnt_lo_u32_b32 v18, -1, 0
	v_and_b32_e32 v11, 0xe0, v0
	v_sub_nc_u64_e64 v[0:1], v[4:5], s[2:3]
	v_sub_nc_u64_e64 v[4:5], v[8:9], s[4:5]
	v_add_nc_u64_e32 v[8:9], v[16:17], v[2:3]
	v_xor_b32_e32 v17, 2, v18
	v_xor_b32_e32 v16, 4, v18
	v_xor_b32_e32 v19, 16, v18
	v_min_i64 v[12:13], v[6:7], v[12:13]
	v_add_nc_u64_e32 v[6:7], v[14:15], v[2:3]
	v_add_nc_u32_e32 v27, v11, v2
	s_mov_b32 s1, s5
	v_cmp_gt_i32_e32 vcc_lo, 32, v19
	v_xor_b32_e32 v14, 8, v18
	s_mov_b32 s8, s5
	v_dual_mov_b32 v28, 1 :: v_dual_cndmask_b32 v15, v18, v19
	s_delay_alu instid0(VALU_DEP_2) | instskip(NEXT) | instid1(VALU_DEP_2)
	v_cmp_gt_i32_e32 vcc_lo, 32, v14
	v_dual_lshlrev_b32 v22, 2, v15 :: v_dual_cndmask_b32 v14, v18, v14, vcc_lo
	v_cmp_gt_i32_e32 vcc_lo, 32, v16
	v_dual_cndmask_b32 v16, v18, v16, vcc_lo :: v_dual_bitop2_b32 v19, 1, v18 bitop3:0x14
	v_cmp_gt_i32_e32 vcc_lo, 32, v17
	s_delay_alu instid0(VALU_DEP_2) | instskip(NEXT) | instid1(VALU_DEP_3)
	v_dual_cndmask_b32 v17, v18, v17 :: v_dual_lshlrev_b32 v24, 2, v16
	v_cmp_gt_i32_e32 vcc_lo, 32, v19
	s_delay_alu instid0(VALU_DEP_2) | instskip(SKIP_1) | instid1(VALU_DEP_1)
	v_dual_lshlrev_b32 v23, 2, v14 :: v_dual_lshlrev_b32 v25, 2, v17
	v_cndmask_b32_e32 v18, v18, v19, vcc_lo
	v_lshlrev_b32_e32 v26, 2, v18
	s_branch .LBB12_8
.LBB12_6:                               ;   in Loop: Header=BB12_8 Depth=1
	s_or_b32 exec_lo, exec_lo, s16
.LBB12_7:                               ;   in Loop: Header=BB12_8 Depth=1
	s_delay_alu instid0(SALU_CYCLE_1)
	s_or_b32 exec_lo, exec_lo, s9
	ds_bpermute_b32 v12, v22, v14
	ds_bpermute_b32 v13, v22, v15
	s_wait_dscnt 0x0
	v_min_i64 v[12:13], v[12:13], v[14:15]
	ds_bpermute_b32 v14, v23, v12
	ds_bpermute_b32 v15, v23, v13
	s_wait_dscnt 0x0
	v_min_i64 v[12:13], v[14:15], v[12:13]
	;; [unrolled: 4-line block ×5, first 2 shown]
	ds_load_u8 v14, v27
	s_wait_dscnt 0x0
	v_cmp_ne_u16_e32 vcc_lo, 0, v14
	s_bcnt1_i32_b32 s9, vcc_lo
	s_delay_alu instid0(SALU_CYCLE_1) | instskip(NEXT) | instid1(SALU_CYCLE_1)
	s_add_co_i32 s8, s9, s8
	v_mov_b32_e32 v14, s8
	v_cmp_le_i64_e64 s0, s[6:7], v[12:13]
	s_or_b32 s1, s0, s1
	s_delay_alu instid0(SALU_CYCLE_1)
	s_and_not1_b32 exec_lo, exec_lo, s1
	s_cbranch_execz .LBB12_27
.LBB12_8:                               ; =>This Loop Header: Depth=1
                                        ;     Child Loop BB12_11 Depth 2
                                        ;     Child Loop BB12_21 Depth 2
	v_mov_b64_e32 v[14:15], s[6:7]
	s_mov_b32 s9, exec_lo
	ds_store_b8 v27, v3
	s_wait_dscnt 0x0
	v_cmpx_lt_i64_e64 v[6:7], v[0:1]
	s_cbranch_execz .LBB12_18
; %bb.9:                                ;   in Loop: Header=BB12_8 Depth=1
	v_mov_b64_e32 v[14:15], s[6:7]
	v_lshl_add_u64 v[16:17], v[6:7], 3, s[10:11]
	s_mov_b32 s16, 0
	s_branch .LBB12_11
.LBB12_10:                              ;   in Loop: Header=BB12_11 Depth=2
	s_or_b32 exec_lo, exec_lo, s17
	s_delay_alu instid0(SALU_CYCLE_1) | instskip(NEXT) | instid1(SALU_CYCLE_1)
	s_and_b32 s0, exec_lo, s0
	s_or_b32 s16, s0, s16
	s_delay_alu instid0(SALU_CYCLE_1)
	s_and_not1_b32 exec_lo, exec_lo, s16
	s_cbranch_execz .LBB12_17
.LBB12_11:                              ;   Parent Loop BB12_8 Depth=1
                                        ; =>  This Inner Loop Header: Depth=2
	global_load_b64 v[18:19], v[16:17], off
	s_wait_loadcnt 0x0
	v_sub_nc_u64_e64 v[20:21], v[18:19], s[2:3]
	s_delay_alu instid0(VALU_DEP_1) | instskip(NEXT) | instid1(VALU_DEP_1)
	v_sub_nc_u64_e32 v[18:19], v[20:21], v[12:13]
	v_cmp_lt_i64_e64 s0, 31, v[18:19]
	v_cmp_gt_i64_e32 vcc_lo, 32, v[18:19]
	s_wait_xcnt 0x0
	s_and_saveexec_b32 s17, s0
	s_delay_alu instid0(SALU_CYCLE_1)
	s_xor_b32 s0, exec_lo, s17
	s_cbranch_execnz .LBB12_14
; %bb.12:                               ;   in Loop: Header=BB12_11 Depth=2
	s_and_not1_saveexec_b32 s0, s0
	s_cbranch_execnz .LBB12_15
.LBB12_13:                              ;   in Loop: Header=BB12_11 Depth=2
	s_or_b32 exec_lo, exec_lo, s0
	s_mov_b32 s0, -1
	s_and_saveexec_b32 s17, vcc_lo
	s_cbranch_execz .LBB12_10
	s_branch .LBB12_16
.LBB12_14:                              ;   in Loop: Header=BB12_11 Depth=2
	v_min_i64 v[14:15], v[20:21], v[14:15]
                                        ; implicit-def: $vgpr18_vgpr19
	s_and_not1_saveexec_b32 s0, s0
	s_cbranch_execz .LBB12_13
.LBB12_15:                              ;   in Loop: Header=BB12_11 Depth=2
	v_add_nc_u32_e32 v18, v11, v18
	ds_store_b8 v18, v28
	s_or_b32 exec_lo, exec_lo, s0
	s_mov_b32 s0, -1
	s_and_saveexec_b32 s17, vcc_lo
	s_cbranch_execz .LBB12_10
.LBB12_16:                              ;   in Loop: Header=BB12_11 Depth=2
	v_add_nc_u64_e32 v[6:7], 32, v[6:7]
	v_add_nc_u64_e32 v[16:17], 0x100, v[16:17]
	s_delay_alu instid0(VALU_DEP_2)
	v_cmp_ge_i64_e32 vcc_lo, v[6:7], v[0:1]
	s_or_not1_b32 s0, vcc_lo, exec_lo
	s_branch .LBB12_10
.LBB12_17:                              ;   in Loop: Header=BB12_8 Depth=1
	s_or_b32 exec_lo, exec_lo, s16
.LBB12_18:                              ;   in Loop: Header=BB12_8 Depth=1
	s_delay_alu instid0(SALU_CYCLE_1) | instskip(NEXT) | instid1(SALU_CYCLE_1)
	s_or_b32 exec_lo, exec_lo, s9
	s_mov_b32 s9, exec_lo
	v_cmpx_lt_i64_e64 v[8:9], v[4:5]
	s_cbranch_execz .LBB12_7
; %bb.19:                               ;   in Loop: Header=BB12_8 Depth=1
	s_wait_kmcnt 0x0
	v_lshl_add_u64 v[16:17], v[8:9], 3, s[12:13]
	s_mov_b32 s16, 0
	s_branch .LBB12_21
.LBB12_20:                              ;   in Loop: Header=BB12_21 Depth=2
	s_or_b32 exec_lo, exec_lo, s17
	s_delay_alu instid0(SALU_CYCLE_1) | instskip(NEXT) | instid1(SALU_CYCLE_1)
	s_and_b32 s0, exec_lo, s0
	s_or_b32 s16, s0, s16
	s_delay_alu instid0(SALU_CYCLE_1)
	s_and_not1_b32 exec_lo, exec_lo, s16
	s_cbranch_execz .LBB12_6
.LBB12_21:                              ;   Parent Loop BB12_8 Depth=1
                                        ; =>  This Inner Loop Header: Depth=2
	global_load_b64 v[18:19], v[16:17], off
	s_wait_loadcnt 0x0
	v_sub_nc_u64_e64 v[20:21], v[18:19], s[4:5]
	s_delay_alu instid0(VALU_DEP_1) | instskip(NEXT) | instid1(VALU_DEP_1)
	v_sub_nc_u64_e32 v[18:19], v[20:21], v[12:13]
	v_cmp_lt_i64_e64 s0, 31, v[18:19]
	v_cmp_gt_i64_e32 vcc_lo, 32, v[18:19]
	s_and_saveexec_b32 s17, s0
	s_delay_alu instid0(SALU_CYCLE_1)
	s_xor_b32 s0, exec_lo, s17
	s_cbranch_execnz .LBB12_24
; %bb.22:                               ;   in Loop: Header=BB12_21 Depth=2
	s_and_not1_saveexec_b32 s0, s0
	s_cbranch_execnz .LBB12_25
.LBB12_23:                              ;   in Loop: Header=BB12_21 Depth=2
	s_or_b32 exec_lo, exec_lo, s0
	s_mov_b32 s0, -1
	s_and_saveexec_b32 s17, vcc_lo
	s_cbranch_execz .LBB12_20
	s_branch .LBB12_26
.LBB12_24:                              ;   in Loop: Header=BB12_21 Depth=2
	v_min_i64 v[14:15], v[20:21], v[14:15]
                                        ; implicit-def: $vgpr18_vgpr19
	s_and_not1_saveexec_b32 s0, s0
	s_cbranch_execz .LBB12_23
.LBB12_25:                              ;   in Loop: Header=BB12_21 Depth=2
	v_add_nc_u32_e32 v18, v11, v18
	ds_store_b8 v18, v28
	s_or_b32 exec_lo, exec_lo, s0
	s_mov_b32 s0, -1
	s_and_saveexec_b32 s17, vcc_lo
	s_cbranch_execz .LBB12_20
.LBB12_26:                              ;   in Loop: Header=BB12_21 Depth=2
	v_add_nc_u64_e32 v[8:9], 32, v[8:9]
	v_add_nc_u64_e32 v[16:17], 0x100, v[16:17]
	s_delay_alu instid0(VALU_DEP_2)
	v_cmp_ge_i64_e32 vcc_lo, v[8:9], v[4:5]
	s_or_not1_b32 s0, vcc_lo, exec_lo
	s_branch .LBB12_20
.LBB12_27:
	s_or_b32 exec_lo, exec_lo, s1
	v_cmp_eq_u32_e32 vcc_lo, 31, v2
	s_and_b32 exec_lo, exec_lo, vcc_lo
	s_cbranch_execz .LBB12_29
; %bb.28:
	s_wait_kmcnt 0x0
	global_store_b32 v10, v14, s[14:15] scale_offset
.LBB12_29:
	s_endpgm
	.section	.rodata,"a",@progbits
	.p2align	6, 0x0
	.amdhsa_kernel _ZN9rocsparseL28csrgeam_nnz_multipass_deviceILj256ELj32ElliEEvllPKT1_PKT2_S3_S6_PT3_21rocsparse_index_base_S9_
		.amdhsa_group_segment_fixed_size 256
		.amdhsa_private_segment_fixed_size 0
		.amdhsa_kernarg_size 64
		.amdhsa_user_sgpr_count 2
		.amdhsa_user_sgpr_dispatch_ptr 0
		.amdhsa_user_sgpr_queue_ptr 0
		.amdhsa_user_sgpr_kernarg_segment_ptr 1
		.amdhsa_user_sgpr_dispatch_id 0
		.amdhsa_user_sgpr_kernarg_preload_length 0
		.amdhsa_user_sgpr_kernarg_preload_offset 0
		.amdhsa_user_sgpr_private_segment_size 0
		.amdhsa_wavefront_size32 1
		.amdhsa_uses_dynamic_stack 0
		.amdhsa_enable_private_segment 0
		.amdhsa_system_sgpr_workgroup_id_x 1
		.amdhsa_system_sgpr_workgroup_id_y 0
		.amdhsa_system_sgpr_workgroup_id_z 0
		.amdhsa_system_sgpr_workgroup_info 0
		.amdhsa_system_vgpr_workitem_id 0
		.amdhsa_next_free_vgpr 29
		.amdhsa_next_free_sgpr 18
		.amdhsa_named_barrier_count 0
		.amdhsa_reserve_vcc 1
		.amdhsa_float_round_mode_32 0
		.amdhsa_float_round_mode_16_64 0
		.amdhsa_float_denorm_mode_32 3
		.amdhsa_float_denorm_mode_16_64 3
		.amdhsa_fp16_overflow 0
		.amdhsa_memory_ordered 1
		.amdhsa_forward_progress 1
		.amdhsa_inst_pref_size 10
		.amdhsa_round_robin_scheduling 0
		.amdhsa_exception_fp_ieee_invalid_op 0
		.amdhsa_exception_fp_denorm_src 0
		.amdhsa_exception_fp_ieee_div_zero 0
		.amdhsa_exception_fp_ieee_overflow 0
		.amdhsa_exception_fp_ieee_underflow 0
		.amdhsa_exception_fp_ieee_inexact 0
		.amdhsa_exception_int_div_zero 0
	.end_amdhsa_kernel
	.section	.text._ZN9rocsparseL28csrgeam_nnz_multipass_deviceILj256ELj32ElliEEvllPKT1_PKT2_S3_S6_PT3_21rocsparse_index_base_S9_,"axG",@progbits,_ZN9rocsparseL28csrgeam_nnz_multipass_deviceILj256ELj32ElliEEvllPKT1_PKT2_S3_S6_PT3_21rocsparse_index_base_S9_,comdat
.Lfunc_end12:
	.size	_ZN9rocsparseL28csrgeam_nnz_multipass_deviceILj256ELj32ElliEEvllPKT1_PKT2_S3_S6_PT3_21rocsparse_index_base_S9_, .Lfunc_end12-_ZN9rocsparseL28csrgeam_nnz_multipass_deviceILj256ELj32ElliEEvllPKT1_PKT2_S3_S6_PT3_21rocsparse_index_base_S9_
                                        ; -- End function
	.set _ZN9rocsparseL28csrgeam_nnz_multipass_deviceILj256ELj32ElliEEvllPKT1_PKT2_S3_S6_PT3_21rocsparse_index_base_S9_.num_vgpr, 29
	.set _ZN9rocsparseL28csrgeam_nnz_multipass_deviceILj256ELj32ElliEEvllPKT1_PKT2_S3_S6_PT3_21rocsparse_index_base_S9_.num_agpr, 0
	.set _ZN9rocsparseL28csrgeam_nnz_multipass_deviceILj256ELj32ElliEEvllPKT1_PKT2_S3_S6_PT3_21rocsparse_index_base_S9_.numbered_sgpr, 18
	.set _ZN9rocsparseL28csrgeam_nnz_multipass_deviceILj256ELj32ElliEEvllPKT1_PKT2_S3_S6_PT3_21rocsparse_index_base_S9_.num_named_barrier, 0
	.set _ZN9rocsparseL28csrgeam_nnz_multipass_deviceILj256ELj32ElliEEvllPKT1_PKT2_S3_S6_PT3_21rocsparse_index_base_S9_.private_seg_size, 0
	.set _ZN9rocsparseL28csrgeam_nnz_multipass_deviceILj256ELj32ElliEEvllPKT1_PKT2_S3_S6_PT3_21rocsparse_index_base_S9_.uses_vcc, 1
	.set _ZN9rocsparseL28csrgeam_nnz_multipass_deviceILj256ELj32ElliEEvllPKT1_PKT2_S3_S6_PT3_21rocsparse_index_base_S9_.uses_flat_scratch, 0
	.set _ZN9rocsparseL28csrgeam_nnz_multipass_deviceILj256ELj32ElliEEvllPKT1_PKT2_S3_S6_PT3_21rocsparse_index_base_S9_.has_dyn_sized_stack, 0
	.set _ZN9rocsparseL28csrgeam_nnz_multipass_deviceILj256ELj32ElliEEvllPKT1_PKT2_S3_S6_PT3_21rocsparse_index_base_S9_.has_recursion, 0
	.set _ZN9rocsparseL28csrgeam_nnz_multipass_deviceILj256ELj32ElliEEvllPKT1_PKT2_S3_S6_PT3_21rocsparse_index_base_S9_.has_indirect_call, 0
	.section	.AMDGPU.csdata,"",@progbits
; Kernel info:
; codeLenInByte = 1248
; TotalNumSgprs: 20
; NumVgprs: 29
; ScratchSize: 0
; MemoryBound: 0
; FloatMode: 240
; IeeeMode: 1
; LDSByteSize: 256 bytes/workgroup (compile time only)
; SGPRBlocks: 0
; VGPRBlocks: 1
; NumSGPRsForWavesPerEU: 20
; NumVGPRsForWavesPerEU: 29
; NamedBarCnt: 0
; Occupancy: 16
; WaveLimiterHint : 1
; COMPUTE_PGM_RSRC2:SCRATCH_EN: 0
; COMPUTE_PGM_RSRC2:USER_SGPR: 2
; COMPUTE_PGM_RSRC2:TRAP_HANDLER: 0
; COMPUTE_PGM_RSRC2:TGID_X_EN: 1
; COMPUTE_PGM_RSRC2:TGID_Y_EN: 0
; COMPUTE_PGM_RSRC2:TGID_Z_EN: 0
; COMPUTE_PGM_RSRC2:TIDIG_COMP_CNT: 0
	.section	.text._ZN9rocsparseL28csrgeam_nnz_multipass_deviceILj256ELj32ElllEEvllPKT1_PKT2_S3_S6_PT3_21rocsparse_index_base_S9_,"axG",@progbits,_ZN9rocsparseL28csrgeam_nnz_multipass_deviceILj256ELj32ElllEEvllPKT1_PKT2_S3_S6_PT3_21rocsparse_index_base_S9_,comdat
	.globl	_ZN9rocsparseL28csrgeam_nnz_multipass_deviceILj256ELj32ElllEEvllPKT1_PKT2_S3_S6_PT3_21rocsparse_index_base_S9_ ; -- Begin function _ZN9rocsparseL28csrgeam_nnz_multipass_deviceILj256ELj32ElllEEvllPKT1_PKT2_S3_S6_PT3_21rocsparse_index_base_S9_
	.p2align	8
	.type	_ZN9rocsparseL28csrgeam_nnz_multipass_deviceILj256ELj32ElllEEvllPKT1_PKT2_S3_S6_PT3_21rocsparse_index_base_S9_,@function
_ZN9rocsparseL28csrgeam_nnz_multipass_deviceILj256ELj32ElllEEvllPKT1_PKT2_S3_S6_PT3_21rocsparse_index_base_S9_: ; @_ZN9rocsparseL28csrgeam_nnz_multipass_deviceILj256ELj32ElllEEvllPKT1_PKT2_S3_S6_PT3_21rocsparse_index_base_S9_
; %bb.0:
	s_load_b128 s[4:7], s[0:1], 0x0
	s_bfe_u32 s2, ttmp6, 0x4000c
	s_and_b32 s3, ttmp6, 15
	s_add_co_i32 s2, s2, 1
	s_getreg_b32 s8, hwreg(HW_REG_IB_STS2, 6, 4)
	s_mul_i32 s2, ttmp9, s2
	v_dual_lshrrev_b32 v1, 5, v0 :: v_dual_mov_b32 v11, 0
	s_add_co_i32 s3, s3, s2
	s_cmp_eq_u32 s8, 0
	s_cselect_b32 s2, ttmp9, s3
	s_mov_b32 s3, 0
	s_lshl_b32 s2, s2, 3
	s_delay_alu instid0(SALU_CYCLE_1) | instskip(SKIP_2) | instid1(VALU_DEP_1)
	v_and_or_b32 v10, 0x7fffff8, s2, v1
	s_mov_b32 s2, exec_lo
	s_wait_kmcnt 0x0
	v_cmpx_gt_i64_e64 s[4:5], v[10:11]
	s_cbranch_execz .LBB13_29
; %bb.1:
	s_clause 0x1
	s_load_b128 s[8:11], s[0:1], 0x10
	s_load_b64 s[4:5], s[0:1], 0x20
	v_lshlrev_b32_e32 v1, 3, v10
	v_mov_b64_e32 v[12:13], s[6:7]
	s_wait_kmcnt 0x0
	s_clause 0x1
	global_load_b128 v[2:5], v1, s[8:9]
	global_load_b128 v[6:9], v1, s[4:5]
	s_wait_xcnt 0x1
	s_load_b64 s[8:9], s[0:1], 0x38
	s_mov_b32 s4, exec_lo
	s_wait_kmcnt 0x0
	s_mov_b32 s2, s8
	s_wait_loadcnt 0x1
	v_sub_nc_u64_e64 v[14:15], v[2:3], s[2:3]
	v_cmpx_lt_i64_e64 v[2:3], v[4:5]
	s_cbranch_execz .LBB13_3
; %bb.2:
	s_delay_alu instid0(VALU_DEP_2)
	v_lshl_add_u64 v[2:3], v[14:15], 3, s[10:11]
	global_load_b64 v[2:3], v[2:3], off
	s_wait_loadcnt 0x0
	v_sub_nc_u64_e64 v[12:13], v[2:3], s[2:3]
.LBB13_3:
	s_or_b32 exec_lo, exec_lo, s4
	s_load_b128 s[12:15], s[0:1], 0x28
	s_mov_b32 s5, 0
	s_mov_b32 s8, s9
	;; [unrolled: 1-line block ×3, first 2 shown]
	s_wait_loadcnt 0x0
	v_cmp_lt_i64_e32 vcc_lo, v[6:7], v[8:9]
	v_sub_nc_u64_e64 v[16:17], v[6:7], s[8:9]
	v_mov_b64_e32 v[6:7], s[6:7]
	s_wait_xcnt 0x0
	s_and_saveexec_b32 s0, vcc_lo
	s_cbranch_execz .LBB13_5
; %bb.4:
	s_wait_kmcnt 0x0
	s_delay_alu instid0(VALU_DEP_2)
	v_lshl_add_u64 v[2:3], v[16:17], 3, s[12:13]
	global_load_b64 v[2:3], v[2:3], off
	s_wait_loadcnt 0x0
	v_sub_nc_u64_e64 v[6:7], v[2:3], s[8:9]
.LBB13_5:
	s_or_b32 exec_lo, exec_lo, s0
	v_dual_mov_b32 v3, 0 :: v_dual_bitop2_b32 v2, 31, v0 bitop3:0x40
	v_mbcnt_lo_u32_b32 v18, -1, 0
	v_and_b32_e32 v11, 0xe0, v0
	v_sub_nc_u64_e64 v[0:1], v[4:5], s[2:3]
	v_sub_nc_u64_e64 v[4:5], v[8:9], s[8:9]
	v_add_nc_u64_e32 v[8:9], v[16:17], v[2:3]
	v_xor_b32_e32 v17, 2, v18
	v_xor_b32_e32 v16, 4, v18
	;; [unrolled: 1-line block ×3, first 2 shown]
	v_min_i64 v[12:13], v[6:7], v[12:13]
	v_add_nc_u64_e32 v[6:7], v[14:15], v[2:3]
	v_add_nc_u32_e32 v27, v11, v2
	s_mov_b64 s[16:17], 0
	v_cmp_gt_i32_e32 vcc_lo, 32, v19
	v_xor_b32_e32 v14, 8, v18
	s_mov_b32 s1, 0
	v_dual_mov_b32 v28, 1 :: v_dual_cndmask_b32 v15, v18, v19
	s_delay_alu instid0(VALU_DEP_2) | instskip(NEXT) | instid1(VALU_DEP_2)
	v_cmp_gt_i32_e32 vcc_lo, 32, v14
	v_dual_lshlrev_b32 v22, 2, v15 :: v_dual_cndmask_b32 v14, v18, v14, vcc_lo
	v_cmp_gt_i32_e32 vcc_lo, 32, v16
	v_dual_cndmask_b32 v16, v18, v16, vcc_lo :: v_dual_bitop2_b32 v19, 1, v18 bitop3:0x14
	v_cmp_gt_i32_e32 vcc_lo, 32, v17
	s_delay_alu instid0(VALU_DEP_2) | instskip(NEXT) | instid1(VALU_DEP_3)
	v_dual_cndmask_b32 v17, v18, v17 :: v_dual_lshlrev_b32 v24, 2, v16
	v_cmp_gt_i32_e32 vcc_lo, 32, v19
	s_delay_alu instid0(VALU_DEP_2) | instskip(SKIP_1) | instid1(VALU_DEP_1)
	v_dual_lshlrev_b32 v23, 2, v14 :: v_dual_lshlrev_b32 v25, 2, v17
	v_cndmask_b32_e32 v18, v18, v19, vcc_lo
	v_lshlrev_b32_e32 v26, 2, v18
	s_branch .LBB13_8
.LBB13_6:                               ;   in Loop: Header=BB13_8 Depth=1
	s_or_b32 exec_lo, exec_lo, s18
.LBB13_7:                               ;   in Loop: Header=BB13_8 Depth=1
	s_delay_alu instid0(SALU_CYCLE_1)
	s_or_b32 exec_lo, exec_lo, s4
	ds_bpermute_b32 v12, v22, v14
	ds_bpermute_b32 v13, v22, v15
	s_wait_dscnt 0x0
	v_min_i64 v[12:13], v[12:13], v[14:15]
	ds_bpermute_b32 v14, v23, v12
	ds_bpermute_b32 v15, v23, v13
	s_wait_dscnt 0x0
	v_min_i64 v[12:13], v[14:15], v[12:13]
	;; [unrolled: 4-line block ×5, first 2 shown]
	ds_load_u8 v14, v27
	s_wait_dscnt 0x0
	v_cmp_ne_u16_e32 vcc_lo, 0, v14
	s_bcnt1_i32_b32 s4, vcc_lo
	s_delay_alu instid0(SALU_CYCLE_1) | instskip(NEXT) | instid1(SALU_CYCLE_1)
	s_add_nc_u64 s[16:17], s[16:17], s[4:5]
	v_mov_b64_e32 v[14:15], s[16:17]
	v_cmp_le_i64_e64 s0, s[6:7], v[12:13]
	s_or_b32 s1, s0, s1
	s_delay_alu instid0(SALU_CYCLE_1)
	s_and_not1_b32 exec_lo, exec_lo, s1
	s_cbranch_execz .LBB13_27
.LBB13_8:                               ; =>This Loop Header: Depth=1
                                        ;     Child Loop BB13_11 Depth 2
                                        ;     Child Loop BB13_21 Depth 2
	v_mov_b64_e32 v[14:15], s[6:7]
	s_mov_b32 s4, exec_lo
	ds_store_b8 v27, v3
	s_wait_dscnt 0x0
	v_cmpx_lt_i64_e64 v[6:7], v[0:1]
	s_cbranch_execz .LBB13_18
; %bb.9:                                ;   in Loop: Header=BB13_8 Depth=1
	v_mov_b64_e32 v[14:15], s[6:7]
	v_lshl_add_u64 v[16:17], v[6:7], 3, s[10:11]
	s_mov_b32 s18, 0
	s_branch .LBB13_11
.LBB13_10:                              ;   in Loop: Header=BB13_11 Depth=2
	s_or_b32 exec_lo, exec_lo, s19
	s_delay_alu instid0(SALU_CYCLE_1) | instskip(NEXT) | instid1(SALU_CYCLE_1)
	s_and_b32 s0, exec_lo, s0
	s_or_b32 s18, s0, s18
	s_delay_alu instid0(SALU_CYCLE_1)
	s_and_not1_b32 exec_lo, exec_lo, s18
	s_cbranch_execz .LBB13_17
.LBB13_11:                              ;   Parent Loop BB13_8 Depth=1
                                        ; =>  This Inner Loop Header: Depth=2
	global_load_b64 v[18:19], v[16:17], off
	s_wait_loadcnt 0x0
	v_sub_nc_u64_e64 v[20:21], v[18:19], s[2:3]
	s_delay_alu instid0(VALU_DEP_1) | instskip(NEXT) | instid1(VALU_DEP_1)
	v_sub_nc_u64_e32 v[18:19], v[20:21], v[12:13]
	v_cmp_lt_i64_e64 s0, 31, v[18:19]
	v_cmp_gt_i64_e32 vcc_lo, 32, v[18:19]
	s_wait_xcnt 0x0
	s_and_saveexec_b32 s19, s0
	s_delay_alu instid0(SALU_CYCLE_1)
	s_xor_b32 s0, exec_lo, s19
	s_cbranch_execnz .LBB13_14
; %bb.12:                               ;   in Loop: Header=BB13_11 Depth=2
	s_and_not1_saveexec_b32 s0, s0
	s_cbranch_execnz .LBB13_15
.LBB13_13:                              ;   in Loop: Header=BB13_11 Depth=2
	s_or_b32 exec_lo, exec_lo, s0
	s_mov_b32 s0, -1
	s_and_saveexec_b32 s19, vcc_lo
	s_cbranch_execz .LBB13_10
	s_branch .LBB13_16
.LBB13_14:                              ;   in Loop: Header=BB13_11 Depth=2
	v_min_i64 v[14:15], v[20:21], v[14:15]
                                        ; implicit-def: $vgpr18_vgpr19
	s_and_not1_saveexec_b32 s0, s0
	s_cbranch_execz .LBB13_13
.LBB13_15:                              ;   in Loop: Header=BB13_11 Depth=2
	v_add_nc_u32_e32 v18, v11, v18
	ds_store_b8 v18, v28
	s_or_b32 exec_lo, exec_lo, s0
	s_mov_b32 s0, -1
	s_and_saveexec_b32 s19, vcc_lo
	s_cbranch_execz .LBB13_10
.LBB13_16:                              ;   in Loop: Header=BB13_11 Depth=2
	v_add_nc_u64_e32 v[6:7], 32, v[6:7]
	v_add_nc_u64_e32 v[16:17], 0x100, v[16:17]
	s_delay_alu instid0(VALU_DEP_2)
	v_cmp_ge_i64_e32 vcc_lo, v[6:7], v[0:1]
	s_or_not1_b32 s0, vcc_lo, exec_lo
	s_branch .LBB13_10
.LBB13_17:                              ;   in Loop: Header=BB13_8 Depth=1
	s_or_b32 exec_lo, exec_lo, s18
.LBB13_18:                              ;   in Loop: Header=BB13_8 Depth=1
	s_delay_alu instid0(SALU_CYCLE_1) | instskip(NEXT) | instid1(SALU_CYCLE_1)
	s_or_b32 exec_lo, exec_lo, s4
	s_mov_b32 s4, exec_lo
	v_cmpx_lt_i64_e64 v[8:9], v[4:5]
	s_cbranch_execz .LBB13_7
; %bb.19:                               ;   in Loop: Header=BB13_8 Depth=1
	s_wait_kmcnt 0x0
	v_lshl_add_u64 v[16:17], v[8:9], 3, s[12:13]
	s_mov_b32 s18, 0
	s_branch .LBB13_21
.LBB13_20:                              ;   in Loop: Header=BB13_21 Depth=2
	s_or_b32 exec_lo, exec_lo, s19
	s_delay_alu instid0(SALU_CYCLE_1) | instskip(NEXT) | instid1(SALU_CYCLE_1)
	s_and_b32 s0, exec_lo, s0
	s_or_b32 s18, s0, s18
	s_delay_alu instid0(SALU_CYCLE_1)
	s_and_not1_b32 exec_lo, exec_lo, s18
	s_cbranch_execz .LBB13_6
.LBB13_21:                              ;   Parent Loop BB13_8 Depth=1
                                        ; =>  This Inner Loop Header: Depth=2
	global_load_b64 v[18:19], v[16:17], off
	s_wait_loadcnt 0x0
	v_sub_nc_u64_e64 v[20:21], v[18:19], s[8:9]
	s_delay_alu instid0(VALU_DEP_1) | instskip(NEXT) | instid1(VALU_DEP_1)
	v_sub_nc_u64_e32 v[18:19], v[20:21], v[12:13]
	v_cmp_lt_i64_e64 s0, 31, v[18:19]
	v_cmp_gt_i64_e32 vcc_lo, 32, v[18:19]
	s_and_saveexec_b32 s19, s0
	s_delay_alu instid0(SALU_CYCLE_1)
	s_xor_b32 s0, exec_lo, s19
	s_cbranch_execnz .LBB13_24
; %bb.22:                               ;   in Loop: Header=BB13_21 Depth=2
	s_and_not1_saveexec_b32 s0, s0
	s_cbranch_execnz .LBB13_25
.LBB13_23:                              ;   in Loop: Header=BB13_21 Depth=2
	s_or_b32 exec_lo, exec_lo, s0
	s_mov_b32 s0, -1
	s_and_saveexec_b32 s19, vcc_lo
	s_cbranch_execz .LBB13_20
	s_branch .LBB13_26
.LBB13_24:                              ;   in Loop: Header=BB13_21 Depth=2
	v_min_i64 v[14:15], v[20:21], v[14:15]
                                        ; implicit-def: $vgpr18_vgpr19
	s_and_not1_saveexec_b32 s0, s0
	s_cbranch_execz .LBB13_23
.LBB13_25:                              ;   in Loop: Header=BB13_21 Depth=2
	v_add_nc_u32_e32 v18, v11, v18
	ds_store_b8 v18, v28
	s_or_b32 exec_lo, exec_lo, s0
	s_mov_b32 s0, -1
	s_and_saveexec_b32 s19, vcc_lo
	s_cbranch_execz .LBB13_20
.LBB13_26:                              ;   in Loop: Header=BB13_21 Depth=2
	v_add_nc_u64_e32 v[8:9], 32, v[8:9]
	v_add_nc_u64_e32 v[16:17], 0x100, v[16:17]
	s_delay_alu instid0(VALU_DEP_2)
	v_cmp_ge_i64_e32 vcc_lo, v[8:9], v[4:5]
	s_or_not1_b32 s0, vcc_lo, exec_lo
	s_branch .LBB13_20
.LBB13_27:
	s_or_b32 exec_lo, exec_lo, s1
	v_cmp_eq_u32_e32 vcc_lo, 31, v2
	s_and_b32 exec_lo, exec_lo, vcc_lo
	s_cbranch_execz .LBB13_29
; %bb.28:
	s_wait_kmcnt 0x0
	global_store_b64 v10, v[14:15], s[14:15] scale_offset
.LBB13_29:
	s_endpgm
	.section	.rodata,"a",@progbits
	.p2align	6, 0x0
	.amdhsa_kernel _ZN9rocsparseL28csrgeam_nnz_multipass_deviceILj256ELj32ElllEEvllPKT1_PKT2_S3_S6_PT3_21rocsparse_index_base_S9_
		.amdhsa_group_segment_fixed_size 256
		.amdhsa_private_segment_fixed_size 0
		.amdhsa_kernarg_size 64
		.amdhsa_user_sgpr_count 2
		.amdhsa_user_sgpr_dispatch_ptr 0
		.amdhsa_user_sgpr_queue_ptr 0
		.amdhsa_user_sgpr_kernarg_segment_ptr 1
		.amdhsa_user_sgpr_dispatch_id 0
		.amdhsa_user_sgpr_kernarg_preload_length 0
		.amdhsa_user_sgpr_kernarg_preload_offset 0
		.amdhsa_user_sgpr_private_segment_size 0
		.amdhsa_wavefront_size32 1
		.amdhsa_uses_dynamic_stack 0
		.amdhsa_enable_private_segment 0
		.amdhsa_system_sgpr_workgroup_id_x 1
		.amdhsa_system_sgpr_workgroup_id_y 0
		.amdhsa_system_sgpr_workgroup_id_z 0
		.amdhsa_system_sgpr_workgroup_info 0
		.amdhsa_system_vgpr_workitem_id 0
		.amdhsa_next_free_vgpr 29
		.amdhsa_next_free_sgpr 20
		.amdhsa_named_barrier_count 0
		.amdhsa_reserve_vcc 1
		.amdhsa_float_round_mode_32 0
		.amdhsa_float_round_mode_16_64 0
		.amdhsa_float_denorm_mode_32 3
		.amdhsa_float_denorm_mode_16_64 3
		.amdhsa_fp16_overflow 0
		.amdhsa_memory_ordered 1
		.amdhsa_forward_progress 1
		.amdhsa_inst_pref_size 10
		.amdhsa_round_robin_scheduling 0
		.amdhsa_exception_fp_ieee_invalid_op 0
		.amdhsa_exception_fp_denorm_src 0
		.amdhsa_exception_fp_ieee_div_zero 0
		.amdhsa_exception_fp_ieee_overflow 0
		.amdhsa_exception_fp_ieee_underflow 0
		.amdhsa_exception_fp_ieee_inexact 0
		.amdhsa_exception_int_div_zero 0
	.end_amdhsa_kernel
	.section	.text._ZN9rocsparseL28csrgeam_nnz_multipass_deviceILj256ELj32ElllEEvllPKT1_PKT2_S3_S6_PT3_21rocsparse_index_base_S9_,"axG",@progbits,_ZN9rocsparseL28csrgeam_nnz_multipass_deviceILj256ELj32ElllEEvllPKT1_PKT2_S3_S6_PT3_21rocsparse_index_base_S9_,comdat
.Lfunc_end13:
	.size	_ZN9rocsparseL28csrgeam_nnz_multipass_deviceILj256ELj32ElllEEvllPKT1_PKT2_S3_S6_PT3_21rocsparse_index_base_S9_, .Lfunc_end13-_ZN9rocsparseL28csrgeam_nnz_multipass_deviceILj256ELj32ElllEEvllPKT1_PKT2_S3_S6_PT3_21rocsparse_index_base_S9_
                                        ; -- End function
	.set _ZN9rocsparseL28csrgeam_nnz_multipass_deviceILj256ELj32ElllEEvllPKT1_PKT2_S3_S6_PT3_21rocsparse_index_base_S9_.num_vgpr, 29
	.set _ZN9rocsparseL28csrgeam_nnz_multipass_deviceILj256ELj32ElllEEvllPKT1_PKT2_S3_S6_PT3_21rocsparse_index_base_S9_.num_agpr, 0
	.set _ZN9rocsparseL28csrgeam_nnz_multipass_deviceILj256ELj32ElllEEvllPKT1_PKT2_S3_S6_PT3_21rocsparse_index_base_S9_.numbered_sgpr, 20
	.set _ZN9rocsparseL28csrgeam_nnz_multipass_deviceILj256ELj32ElllEEvllPKT1_PKT2_S3_S6_PT3_21rocsparse_index_base_S9_.num_named_barrier, 0
	.set _ZN9rocsparseL28csrgeam_nnz_multipass_deviceILj256ELj32ElllEEvllPKT1_PKT2_S3_S6_PT3_21rocsparse_index_base_S9_.private_seg_size, 0
	.set _ZN9rocsparseL28csrgeam_nnz_multipass_deviceILj256ELj32ElllEEvllPKT1_PKT2_S3_S6_PT3_21rocsparse_index_base_S9_.uses_vcc, 1
	.set _ZN9rocsparseL28csrgeam_nnz_multipass_deviceILj256ELj32ElllEEvllPKT1_PKT2_S3_S6_PT3_21rocsparse_index_base_S9_.uses_flat_scratch, 0
	.set _ZN9rocsparseL28csrgeam_nnz_multipass_deviceILj256ELj32ElllEEvllPKT1_PKT2_S3_S6_PT3_21rocsparse_index_base_S9_.has_dyn_sized_stack, 0
	.set _ZN9rocsparseL28csrgeam_nnz_multipass_deviceILj256ELj32ElllEEvllPKT1_PKT2_S3_S6_PT3_21rocsparse_index_base_S9_.has_recursion, 0
	.set _ZN9rocsparseL28csrgeam_nnz_multipass_deviceILj256ELj32ElllEEvllPKT1_PKT2_S3_S6_PT3_21rocsparse_index_base_S9_.has_indirect_call, 0
	.section	.AMDGPU.csdata,"",@progbits
; Kernel info:
; codeLenInByte = 1252
; TotalNumSgprs: 22
; NumVgprs: 29
; ScratchSize: 0
; MemoryBound: 0
; FloatMode: 240
; IeeeMode: 1
; LDSByteSize: 256 bytes/workgroup (compile time only)
; SGPRBlocks: 0
; VGPRBlocks: 1
; NumSGPRsForWavesPerEU: 22
; NumVGPRsForWavesPerEU: 29
; NamedBarCnt: 0
; Occupancy: 16
; WaveLimiterHint : 1
; COMPUTE_PGM_RSRC2:SCRATCH_EN: 0
; COMPUTE_PGM_RSRC2:USER_SGPR: 2
; COMPUTE_PGM_RSRC2:TRAP_HANDLER: 0
; COMPUTE_PGM_RSRC2:TGID_X_EN: 1
; COMPUTE_PGM_RSRC2:TGID_Y_EN: 0
; COMPUTE_PGM_RSRC2:TGID_Z_EN: 0
; COMPUTE_PGM_RSRC2:TIDIG_COMP_CNT: 0
	.section	.text._ZN9rocsparseL28csrgeam_nnz_multipass_deviceILj256ELj64ElliEEvllPKT1_PKT2_S3_S6_PT3_21rocsparse_index_base_S9_,"axG",@progbits,_ZN9rocsparseL28csrgeam_nnz_multipass_deviceILj256ELj64ElliEEvllPKT1_PKT2_S3_S6_PT3_21rocsparse_index_base_S9_,comdat
	.globl	_ZN9rocsparseL28csrgeam_nnz_multipass_deviceILj256ELj64ElliEEvllPKT1_PKT2_S3_S6_PT3_21rocsparse_index_base_S9_ ; -- Begin function _ZN9rocsparseL28csrgeam_nnz_multipass_deviceILj256ELj64ElliEEvllPKT1_PKT2_S3_S6_PT3_21rocsparse_index_base_S9_
	.p2align	8
	.type	_ZN9rocsparseL28csrgeam_nnz_multipass_deviceILj256ELj64ElliEEvllPKT1_PKT2_S3_S6_PT3_21rocsparse_index_base_S9_,@function
_ZN9rocsparseL28csrgeam_nnz_multipass_deviceILj256ELj64ElliEEvllPKT1_PKT2_S3_S6_PT3_21rocsparse_index_base_S9_: ; @_ZN9rocsparseL28csrgeam_nnz_multipass_deviceILj256ELj64ElliEEvllPKT1_PKT2_S3_S6_PT3_21rocsparse_index_base_S9_
; %bb.0:
	s_load_b128 s[4:7], s[0:1], 0x0
	s_bfe_u32 s2, ttmp6, 0x4000c
	s_and_b32 s3, ttmp6, 15
	s_add_co_i32 s2, s2, 1
	s_getreg_b32 s8, hwreg(HW_REG_IB_STS2, 6, 4)
	s_mul_i32 s2, ttmp9, s2
	v_dual_lshrrev_b32 v1, 6, v0 :: v_dual_mov_b32 v11, 0
	s_add_co_i32 s3, s3, s2
	s_cmp_eq_u32 s8, 0
	s_cselect_b32 s2, ttmp9, s3
	s_mov_b32 s3, 0
	s_lshl_b32 s2, s2, 2
	s_delay_alu instid0(SALU_CYCLE_1) | instskip(SKIP_2) | instid1(VALU_DEP_1)
	v_and_or_b32 v10, 0x3fffffc, s2, v1
	s_mov_b32 s2, exec_lo
	s_wait_kmcnt 0x0
	v_cmpx_gt_i64_e64 s[4:5], v[10:11]
	s_cbranch_execz .LBB14_29
; %bb.1:
	s_clause 0x1
	s_load_b128 s[8:11], s[0:1], 0x10
	s_load_b64 s[4:5], s[0:1], 0x20
	v_lshlrev_b32_e32 v1, 3, v10
	v_mov_b64_e32 v[12:13], s[6:7]
	s_wait_kmcnt 0x0
	s_clause 0x1
	global_load_b128 v[2:5], v1, s[8:9]
	global_load_b128 v[6:9], v1, s[4:5]
	s_wait_xcnt 0x1
	s_load_b64 s[8:9], s[0:1], 0x38
	s_mov_b32 s4, exec_lo
	s_wait_kmcnt 0x0
	s_mov_b32 s2, s8
	s_wait_loadcnt 0x1
	v_sub_nc_u64_e64 v[14:15], v[2:3], s[2:3]
	v_cmpx_lt_i64_e64 v[2:3], v[4:5]
	s_cbranch_execz .LBB14_3
; %bb.2:
	s_delay_alu instid0(VALU_DEP_2)
	v_lshl_add_u64 v[2:3], v[14:15], 3, s[10:11]
	global_load_b64 v[2:3], v[2:3], off
	s_wait_loadcnt 0x0
	v_sub_nc_u64_e64 v[12:13], v[2:3], s[2:3]
.LBB14_3:
	s_or_b32 exec_lo, exec_lo, s4
	s_load_b128 s[12:15], s[0:1], 0x28
	s_mov_b32 s5, 0
	s_mov_b32 s4, s9
	s_wait_loadcnt 0x0
	v_cmp_lt_i64_e32 vcc_lo, v[6:7], v[8:9]
	v_sub_nc_u64_e64 v[16:17], v[6:7], s[4:5]
	v_mov_b64_e32 v[6:7], s[6:7]
	s_wait_xcnt 0x0
	s_and_saveexec_b32 s0, vcc_lo
	s_cbranch_execz .LBB14_5
; %bb.4:
	s_wait_kmcnt 0x0
	s_delay_alu instid0(VALU_DEP_2)
	v_lshl_add_u64 v[2:3], v[16:17], 3, s[12:13]
	global_load_b64 v[2:3], v[2:3], off
	s_wait_loadcnt 0x0
	v_sub_nc_u64_e64 v[6:7], v[2:3], s[4:5]
.LBB14_5:
	s_or_b32 exec_lo, exec_lo, s0
	v_mbcnt_lo_u32_b32 v18, -1, 0
	v_and_b32_e32 v11, 0xc0, v0
	s_delay_alu instid0(VALU_DEP_3)
	v_min_i64 v[12:13], v[6:7], v[12:13]
	v_sub_nc_u64_e64 v[2:3], v[4:5], s[2:3]
	v_sub_nc_u64_e64 v[4:5], v[8:9], s[4:5]
	v_dual_mov_b32 v1, 0 :: v_dual_bitop2_b32 v19, 32, v18 bitop3:0x54
	s_mov_b32 s1, s5
	s_mov_b32 s8, s5
	v_mov_b32_e32 v29, 1
	s_delay_alu instid0(VALU_DEP_2) | instskip(SKIP_2) | instid1(VALU_DEP_2)
	v_cmp_gt_i32_e32 vcc_lo, 32, v19
	v_dual_cndmask_b32 v19, v18, v19, vcc_lo :: v_dual_bitop2_b32 v0, 63, v0 bitop3:0x40
	v_xor_b32_e32 v20, 16, v18
	v_add_nc_u64_e32 v[6:7], v[14:15], v[0:1]
	v_add_nc_u64_e32 v[8:9], v[16:17], v[0:1]
	s_delay_alu instid0(VALU_DEP_4) | instskip(NEXT) | instid1(VALU_DEP_4)
	v_dual_lshlrev_b32 v22, 2, v19 :: v_dual_bitop2_b32 v17, 2, v18 bitop3:0x14
	v_cmp_gt_i32_e32 vcc_lo, 32, v20
	v_xor_b32_e32 v14, 8, v18
	v_dual_add_nc_u32 v28, v11, v0 :: v_dual_bitop2_b32 v16, 4, v18 bitop3:0x14
	v_cndmask_b32_e32 v15, v18, v20, vcc_lo
	s_delay_alu instid0(VALU_DEP_3) | instskip(NEXT) | instid1(VALU_DEP_2)
	v_cmp_gt_i32_e32 vcc_lo, 32, v14
	v_dual_lshlrev_b32 v23, 2, v15 :: v_dual_bitop2_b32 v19, 1, v18 bitop3:0x14
	v_cndmask_b32_e32 v14, v18, v14, vcc_lo
	v_cmp_gt_i32_e32 vcc_lo, 32, v16
	v_cndmask_b32_e32 v16, v18, v16, vcc_lo
	v_cmp_gt_i32_e32 vcc_lo, 32, v17
	s_delay_alu instid0(VALU_DEP_2) | instskip(SKIP_2) | instid1(VALU_DEP_1)
	v_dual_lshlrev_b32 v25, 2, v16 :: v_dual_cndmask_b32 v17, v18, v17, vcc_lo
	v_cmp_gt_i32_e32 vcc_lo, 32, v19
	v_dual_cndmask_b32 v18, v18, v19, vcc_lo :: v_dual_lshlrev_b32 v24, 2, v14
	v_dual_lshlrev_b32 v26, 2, v17 :: v_dual_lshlrev_b32 v27, 2, v18
	s_branch .LBB14_8
.LBB14_6:                               ;   in Loop: Header=BB14_8 Depth=1
	s_or_b32 exec_lo, exec_lo, s16
.LBB14_7:                               ;   in Loop: Header=BB14_8 Depth=1
	s_delay_alu instid0(SALU_CYCLE_1)
	s_or_b32 exec_lo, exec_lo, s9
	ds_bpermute_b32 v12, v22, v14
	ds_bpermute_b32 v13, v22, v15
	s_wait_dscnt 0x0
	v_min_i64 v[12:13], v[12:13], v[14:15]
	ds_bpermute_b32 v14, v23, v12
	ds_bpermute_b32 v15, v23, v13
	s_wait_dscnt 0x0
	v_min_i64 v[12:13], v[14:15], v[12:13]
	ds_bpermute_b32 v14, v24, v12
	ds_bpermute_b32 v15, v24, v13
	s_wait_dscnt 0x0
	v_min_i64 v[12:13], v[14:15], v[12:13]
	ds_bpermute_b32 v14, v25, v12
	ds_bpermute_b32 v15, v25, v13
	s_wait_dscnt 0x0
	v_min_i64 v[12:13], v[14:15], v[12:13]
	ds_bpermute_b32 v14, v26, v12
	ds_bpermute_b32 v15, v26, v13
	s_wait_dscnt 0x0
	v_min_i64 v[12:13], v[14:15], v[12:13]
	ds_bpermute_b32 v14, v27, v12
	ds_bpermute_b32 v15, v27, v13
	s_wait_dscnt 0x0
	v_min_i64 v[12:13], v[14:15], v[12:13]
	ds_load_u8 v14, v28
	s_wait_dscnt 0x0
	v_cmp_ne_u16_e32 vcc_lo, 0, v14
	s_bcnt1_i32_b32 s9, vcc_lo
	s_delay_alu instid0(SALU_CYCLE_1) | instskip(NEXT) | instid1(SALU_CYCLE_1)
	s_add_co_i32 s8, s9, s8
	v_mov_b32_e32 v14, s8
	v_cmp_le_i64_e64 s0, s[6:7], v[12:13]
	s_or_b32 s1, s0, s1
	s_delay_alu instid0(SALU_CYCLE_1)
	s_and_not1_b32 exec_lo, exec_lo, s1
	s_cbranch_execz .LBB14_27
.LBB14_8:                               ; =>This Loop Header: Depth=1
                                        ;     Child Loop BB14_11 Depth 2
                                        ;     Child Loop BB14_21 Depth 2
	v_mov_b64_e32 v[14:15], s[6:7]
	s_mov_b32 s9, exec_lo
	ds_store_b8 v28, v1
	s_wait_dscnt 0x0
	v_cmpx_lt_i64_e64 v[6:7], v[2:3]
	s_cbranch_execz .LBB14_18
; %bb.9:                                ;   in Loop: Header=BB14_8 Depth=1
	v_mov_b64_e32 v[14:15], s[6:7]
	v_lshl_add_u64 v[16:17], v[6:7], 3, s[10:11]
	s_mov_b32 s16, 0
	s_branch .LBB14_11
.LBB14_10:                              ;   in Loop: Header=BB14_11 Depth=2
	s_or_b32 exec_lo, exec_lo, s17
	s_delay_alu instid0(SALU_CYCLE_1) | instskip(NEXT) | instid1(SALU_CYCLE_1)
	s_and_b32 s0, exec_lo, s0
	s_or_b32 s16, s0, s16
	s_delay_alu instid0(SALU_CYCLE_1)
	s_and_not1_b32 exec_lo, exec_lo, s16
	s_cbranch_execz .LBB14_17
.LBB14_11:                              ;   Parent Loop BB14_8 Depth=1
                                        ; =>  This Inner Loop Header: Depth=2
	global_load_b64 v[18:19], v[16:17], off
	s_wait_loadcnt 0x0
	v_sub_nc_u64_e64 v[20:21], v[18:19], s[2:3]
	s_delay_alu instid0(VALU_DEP_1) | instskip(NEXT) | instid1(VALU_DEP_1)
	v_sub_nc_u64_e32 v[18:19], v[20:21], v[12:13]
	v_cmp_lt_i64_e64 s0, 63, v[18:19]
	v_cmp_gt_i64_e32 vcc_lo, 64, v[18:19]
	s_wait_xcnt 0x0
	s_and_saveexec_b32 s17, s0
	s_delay_alu instid0(SALU_CYCLE_1)
	s_xor_b32 s0, exec_lo, s17
	s_cbranch_execnz .LBB14_14
; %bb.12:                               ;   in Loop: Header=BB14_11 Depth=2
	s_and_not1_saveexec_b32 s0, s0
	s_cbranch_execnz .LBB14_15
.LBB14_13:                              ;   in Loop: Header=BB14_11 Depth=2
	s_or_b32 exec_lo, exec_lo, s0
	s_mov_b32 s0, -1
	s_and_saveexec_b32 s17, vcc_lo
	s_cbranch_execz .LBB14_10
	s_branch .LBB14_16
.LBB14_14:                              ;   in Loop: Header=BB14_11 Depth=2
	v_min_i64 v[14:15], v[20:21], v[14:15]
                                        ; implicit-def: $vgpr18_vgpr19
	s_and_not1_saveexec_b32 s0, s0
	s_cbranch_execz .LBB14_13
.LBB14_15:                              ;   in Loop: Header=BB14_11 Depth=2
	v_add_nc_u32_e32 v18, v11, v18
	ds_store_b8 v18, v29
	s_or_b32 exec_lo, exec_lo, s0
	s_mov_b32 s0, -1
	s_and_saveexec_b32 s17, vcc_lo
	s_cbranch_execz .LBB14_10
.LBB14_16:                              ;   in Loop: Header=BB14_11 Depth=2
	v_add_nc_u64_e32 v[6:7], 64, v[6:7]
	v_add_nc_u64_e32 v[16:17], 0x200, v[16:17]
	s_delay_alu instid0(VALU_DEP_2)
	v_cmp_ge_i64_e32 vcc_lo, v[6:7], v[2:3]
	s_or_not1_b32 s0, vcc_lo, exec_lo
	s_branch .LBB14_10
.LBB14_17:                              ;   in Loop: Header=BB14_8 Depth=1
	s_or_b32 exec_lo, exec_lo, s16
.LBB14_18:                              ;   in Loop: Header=BB14_8 Depth=1
	s_delay_alu instid0(SALU_CYCLE_1) | instskip(NEXT) | instid1(SALU_CYCLE_1)
	s_or_b32 exec_lo, exec_lo, s9
	s_mov_b32 s9, exec_lo
	v_cmpx_lt_i64_e64 v[8:9], v[4:5]
	s_cbranch_execz .LBB14_7
; %bb.19:                               ;   in Loop: Header=BB14_8 Depth=1
	s_wait_kmcnt 0x0
	v_lshl_add_u64 v[16:17], v[8:9], 3, s[12:13]
	s_mov_b32 s16, 0
	s_branch .LBB14_21
.LBB14_20:                              ;   in Loop: Header=BB14_21 Depth=2
	s_or_b32 exec_lo, exec_lo, s17
	s_delay_alu instid0(SALU_CYCLE_1) | instskip(NEXT) | instid1(SALU_CYCLE_1)
	s_and_b32 s0, exec_lo, s0
	s_or_b32 s16, s0, s16
	s_delay_alu instid0(SALU_CYCLE_1)
	s_and_not1_b32 exec_lo, exec_lo, s16
	s_cbranch_execz .LBB14_6
.LBB14_21:                              ;   Parent Loop BB14_8 Depth=1
                                        ; =>  This Inner Loop Header: Depth=2
	global_load_b64 v[18:19], v[16:17], off
	s_wait_loadcnt 0x0
	v_sub_nc_u64_e64 v[20:21], v[18:19], s[4:5]
	s_delay_alu instid0(VALU_DEP_1) | instskip(NEXT) | instid1(VALU_DEP_1)
	v_sub_nc_u64_e32 v[18:19], v[20:21], v[12:13]
	v_cmp_lt_i64_e64 s0, 63, v[18:19]
	v_cmp_gt_i64_e32 vcc_lo, 64, v[18:19]
	s_and_saveexec_b32 s17, s0
	s_delay_alu instid0(SALU_CYCLE_1)
	s_xor_b32 s0, exec_lo, s17
	s_cbranch_execnz .LBB14_24
; %bb.22:                               ;   in Loop: Header=BB14_21 Depth=2
	s_and_not1_saveexec_b32 s0, s0
	s_cbranch_execnz .LBB14_25
.LBB14_23:                              ;   in Loop: Header=BB14_21 Depth=2
	s_or_b32 exec_lo, exec_lo, s0
	s_mov_b32 s0, -1
	s_and_saveexec_b32 s17, vcc_lo
	s_cbranch_execz .LBB14_20
	s_branch .LBB14_26
.LBB14_24:                              ;   in Loop: Header=BB14_21 Depth=2
	v_min_i64 v[14:15], v[20:21], v[14:15]
                                        ; implicit-def: $vgpr18_vgpr19
	s_and_not1_saveexec_b32 s0, s0
	s_cbranch_execz .LBB14_23
.LBB14_25:                              ;   in Loop: Header=BB14_21 Depth=2
	v_add_nc_u32_e32 v18, v11, v18
	ds_store_b8 v18, v29
	s_or_b32 exec_lo, exec_lo, s0
	s_mov_b32 s0, -1
	s_and_saveexec_b32 s17, vcc_lo
	s_cbranch_execz .LBB14_20
.LBB14_26:                              ;   in Loop: Header=BB14_21 Depth=2
	v_add_nc_u64_e32 v[8:9], 64, v[8:9]
	v_add_nc_u64_e32 v[16:17], 0x200, v[16:17]
	s_delay_alu instid0(VALU_DEP_2)
	v_cmp_ge_i64_e32 vcc_lo, v[8:9], v[4:5]
	s_or_not1_b32 s0, vcc_lo, exec_lo
	s_branch .LBB14_20
.LBB14_27:
	s_or_b32 exec_lo, exec_lo, s1
	v_cmp_eq_u32_e32 vcc_lo, 63, v0
	s_and_b32 exec_lo, exec_lo, vcc_lo
	s_cbranch_execz .LBB14_29
; %bb.28:
	s_wait_kmcnt 0x0
	global_store_b32 v10, v14, s[14:15] scale_offset
.LBB14_29:
	s_endpgm
	.section	.rodata,"a",@progbits
	.p2align	6, 0x0
	.amdhsa_kernel _ZN9rocsparseL28csrgeam_nnz_multipass_deviceILj256ELj64ElliEEvllPKT1_PKT2_S3_S6_PT3_21rocsparse_index_base_S9_
		.amdhsa_group_segment_fixed_size 256
		.amdhsa_private_segment_fixed_size 0
		.amdhsa_kernarg_size 64
		.amdhsa_user_sgpr_count 2
		.amdhsa_user_sgpr_dispatch_ptr 0
		.amdhsa_user_sgpr_queue_ptr 0
		.amdhsa_user_sgpr_kernarg_segment_ptr 1
		.amdhsa_user_sgpr_dispatch_id 0
		.amdhsa_user_sgpr_kernarg_preload_length 0
		.amdhsa_user_sgpr_kernarg_preload_offset 0
		.amdhsa_user_sgpr_private_segment_size 0
		.amdhsa_wavefront_size32 1
		.amdhsa_uses_dynamic_stack 0
		.amdhsa_enable_private_segment 0
		.amdhsa_system_sgpr_workgroup_id_x 1
		.amdhsa_system_sgpr_workgroup_id_y 0
		.amdhsa_system_sgpr_workgroup_id_z 0
		.amdhsa_system_sgpr_workgroup_info 0
		.amdhsa_system_vgpr_workitem_id 0
		.amdhsa_next_free_vgpr 30
		.amdhsa_next_free_sgpr 18
		.amdhsa_named_barrier_count 0
		.amdhsa_reserve_vcc 1
		.amdhsa_float_round_mode_32 0
		.amdhsa_float_round_mode_16_64 0
		.amdhsa_float_denorm_mode_32 3
		.amdhsa_float_denorm_mode_16_64 3
		.amdhsa_fp16_overflow 0
		.amdhsa_memory_ordered 1
		.amdhsa_forward_progress 1
		.amdhsa_inst_pref_size 11
		.amdhsa_round_robin_scheduling 0
		.amdhsa_exception_fp_ieee_invalid_op 0
		.amdhsa_exception_fp_denorm_src 0
		.amdhsa_exception_fp_ieee_div_zero 0
		.amdhsa_exception_fp_ieee_overflow 0
		.amdhsa_exception_fp_ieee_underflow 0
		.amdhsa_exception_fp_ieee_inexact 0
		.amdhsa_exception_int_div_zero 0
	.end_amdhsa_kernel
	.section	.text._ZN9rocsparseL28csrgeam_nnz_multipass_deviceILj256ELj64ElliEEvllPKT1_PKT2_S3_S6_PT3_21rocsparse_index_base_S9_,"axG",@progbits,_ZN9rocsparseL28csrgeam_nnz_multipass_deviceILj256ELj64ElliEEvllPKT1_PKT2_S3_S6_PT3_21rocsparse_index_base_S9_,comdat
.Lfunc_end14:
	.size	_ZN9rocsparseL28csrgeam_nnz_multipass_deviceILj256ELj64ElliEEvllPKT1_PKT2_S3_S6_PT3_21rocsparse_index_base_S9_, .Lfunc_end14-_ZN9rocsparseL28csrgeam_nnz_multipass_deviceILj256ELj64ElliEEvllPKT1_PKT2_S3_S6_PT3_21rocsparse_index_base_S9_
                                        ; -- End function
	.set _ZN9rocsparseL28csrgeam_nnz_multipass_deviceILj256ELj64ElliEEvllPKT1_PKT2_S3_S6_PT3_21rocsparse_index_base_S9_.num_vgpr, 30
	.set _ZN9rocsparseL28csrgeam_nnz_multipass_deviceILj256ELj64ElliEEvllPKT1_PKT2_S3_S6_PT3_21rocsparse_index_base_S9_.num_agpr, 0
	.set _ZN9rocsparseL28csrgeam_nnz_multipass_deviceILj256ELj64ElliEEvllPKT1_PKT2_S3_S6_PT3_21rocsparse_index_base_S9_.numbered_sgpr, 18
	.set _ZN9rocsparseL28csrgeam_nnz_multipass_deviceILj256ELj64ElliEEvllPKT1_PKT2_S3_S6_PT3_21rocsparse_index_base_S9_.num_named_barrier, 0
	.set _ZN9rocsparseL28csrgeam_nnz_multipass_deviceILj256ELj64ElliEEvllPKT1_PKT2_S3_S6_PT3_21rocsparse_index_base_S9_.private_seg_size, 0
	.set _ZN9rocsparseL28csrgeam_nnz_multipass_deviceILj256ELj64ElliEEvllPKT1_PKT2_S3_S6_PT3_21rocsparse_index_base_S9_.uses_vcc, 1
	.set _ZN9rocsparseL28csrgeam_nnz_multipass_deviceILj256ELj64ElliEEvllPKT1_PKT2_S3_S6_PT3_21rocsparse_index_base_S9_.uses_flat_scratch, 0
	.set _ZN9rocsparseL28csrgeam_nnz_multipass_deviceILj256ELj64ElliEEvllPKT1_PKT2_S3_S6_PT3_21rocsparse_index_base_S9_.has_dyn_sized_stack, 0
	.set _ZN9rocsparseL28csrgeam_nnz_multipass_deviceILj256ELj64ElliEEvllPKT1_PKT2_S3_S6_PT3_21rocsparse_index_base_S9_.has_recursion, 0
	.set _ZN9rocsparseL28csrgeam_nnz_multipass_deviceILj256ELj64ElliEEvllPKT1_PKT2_S3_S6_PT3_21rocsparse_index_base_S9_.has_indirect_call, 0
	.section	.AMDGPU.csdata,"",@progbits
; Kernel info:
; codeLenInByte = 1316
; TotalNumSgprs: 20
; NumVgprs: 30
; ScratchSize: 0
; MemoryBound: 0
; FloatMode: 240
; IeeeMode: 1
; LDSByteSize: 256 bytes/workgroup (compile time only)
; SGPRBlocks: 0
; VGPRBlocks: 1
; NumSGPRsForWavesPerEU: 20
; NumVGPRsForWavesPerEU: 30
; NamedBarCnt: 0
; Occupancy: 16
; WaveLimiterHint : 1
; COMPUTE_PGM_RSRC2:SCRATCH_EN: 0
; COMPUTE_PGM_RSRC2:USER_SGPR: 2
; COMPUTE_PGM_RSRC2:TRAP_HANDLER: 0
; COMPUTE_PGM_RSRC2:TGID_X_EN: 1
; COMPUTE_PGM_RSRC2:TGID_Y_EN: 0
; COMPUTE_PGM_RSRC2:TGID_Z_EN: 0
; COMPUTE_PGM_RSRC2:TIDIG_COMP_CNT: 0
	.section	.text._ZN9rocsparseL28csrgeam_nnz_multipass_deviceILj256ELj64ElllEEvllPKT1_PKT2_S3_S6_PT3_21rocsparse_index_base_S9_,"axG",@progbits,_ZN9rocsparseL28csrgeam_nnz_multipass_deviceILj256ELj64ElllEEvllPKT1_PKT2_S3_S6_PT3_21rocsparse_index_base_S9_,comdat
	.globl	_ZN9rocsparseL28csrgeam_nnz_multipass_deviceILj256ELj64ElllEEvllPKT1_PKT2_S3_S6_PT3_21rocsparse_index_base_S9_ ; -- Begin function _ZN9rocsparseL28csrgeam_nnz_multipass_deviceILj256ELj64ElllEEvllPKT1_PKT2_S3_S6_PT3_21rocsparse_index_base_S9_
	.p2align	8
	.type	_ZN9rocsparseL28csrgeam_nnz_multipass_deviceILj256ELj64ElllEEvllPKT1_PKT2_S3_S6_PT3_21rocsparse_index_base_S9_,@function
_ZN9rocsparseL28csrgeam_nnz_multipass_deviceILj256ELj64ElllEEvllPKT1_PKT2_S3_S6_PT3_21rocsparse_index_base_S9_: ; @_ZN9rocsparseL28csrgeam_nnz_multipass_deviceILj256ELj64ElllEEvllPKT1_PKT2_S3_S6_PT3_21rocsparse_index_base_S9_
; %bb.0:
	s_load_b128 s[4:7], s[0:1], 0x0
	s_bfe_u32 s2, ttmp6, 0x4000c
	s_and_b32 s3, ttmp6, 15
	s_add_co_i32 s2, s2, 1
	s_getreg_b32 s8, hwreg(HW_REG_IB_STS2, 6, 4)
	s_mul_i32 s2, ttmp9, s2
	v_dual_lshrrev_b32 v1, 6, v0 :: v_dual_mov_b32 v11, 0
	s_add_co_i32 s3, s3, s2
	s_cmp_eq_u32 s8, 0
	s_cselect_b32 s2, ttmp9, s3
	s_mov_b32 s3, 0
	s_lshl_b32 s2, s2, 2
	s_delay_alu instid0(SALU_CYCLE_1) | instskip(SKIP_2) | instid1(VALU_DEP_1)
	v_and_or_b32 v10, 0x3fffffc, s2, v1
	s_mov_b32 s2, exec_lo
	s_wait_kmcnt 0x0
	v_cmpx_gt_i64_e64 s[4:5], v[10:11]
	s_cbranch_execz .LBB15_29
; %bb.1:
	s_clause 0x1
	s_load_b128 s[8:11], s[0:1], 0x10
	s_load_b64 s[4:5], s[0:1], 0x20
	v_lshlrev_b32_e32 v1, 3, v10
	v_mov_b64_e32 v[12:13], s[6:7]
	s_wait_kmcnt 0x0
	s_clause 0x1
	global_load_b128 v[2:5], v1, s[8:9]
	global_load_b128 v[6:9], v1, s[4:5]
	s_wait_xcnt 0x1
	s_load_b64 s[8:9], s[0:1], 0x38
	s_mov_b32 s4, exec_lo
	s_wait_kmcnt 0x0
	s_mov_b32 s2, s8
	s_wait_loadcnt 0x1
	v_sub_nc_u64_e64 v[14:15], v[2:3], s[2:3]
	v_cmpx_lt_i64_e64 v[2:3], v[4:5]
	s_cbranch_execz .LBB15_3
; %bb.2:
	s_delay_alu instid0(VALU_DEP_2)
	v_lshl_add_u64 v[2:3], v[14:15], 3, s[10:11]
	global_load_b64 v[2:3], v[2:3], off
	s_wait_loadcnt 0x0
	v_sub_nc_u64_e64 v[12:13], v[2:3], s[2:3]
.LBB15_3:
	s_or_b32 exec_lo, exec_lo, s4
	s_load_b128 s[12:15], s[0:1], 0x28
	s_mov_b32 s5, 0
	s_mov_b32 s8, s9
	;; [unrolled: 1-line block ×3, first 2 shown]
	s_wait_loadcnt 0x0
	v_cmp_lt_i64_e32 vcc_lo, v[6:7], v[8:9]
	v_sub_nc_u64_e64 v[16:17], v[6:7], s[8:9]
	v_mov_b64_e32 v[6:7], s[6:7]
	s_wait_xcnt 0x0
	s_and_saveexec_b32 s0, vcc_lo
	s_cbranch_execz .LBB15_5
; %bb.4:
	s_wait_kmcnt 0x0
	s_delay_alu instid0(VALU_DEP_2)
	v_lshl_add_u64 v[2:3], v[16:17], 3, s[12:13]
	global_load_b64 v[2:3], v[2:3], off
	s_wait_loadcnt 0x0
	v_sub_nc_u64_e64 v[6:7], v[2:3], s[8:9]
.LBB15_5:
	s_or_b32 exec_lo, exec_lo, s0
	v_mbcnt_lo_u32_b32 v18, -1, 0
	v_and_b32_e32 v11, 0xc0, v0
	s_delay_alu instid0(VALU_DEP_3)
	v_min_i64 v[12:13], v[6:7], v[12:13]
	v_sub_nc_u64_e64 v[2:3], v[4:5], s[2:3]
	v_sub_nc_u64_e64 v[4:5], v[8:9], s[8:9]
	v_dual_mov_b32 v1, 0 :: v_dual_bitop2_b32 v19, 32, v18 bitop3:0x54
	s_mov_b64 s[16:17], 0
	s_mov_b32 s1, 0
	v_mov_b32_e32 v29, 1
	s_delay_alu instid0(VALU_DEP_2) | instskip(SKIP_2) | instid1(VALU_DEP_2)
	v_cmp_gt_i32_e32 vcc_lo, 32, v19
	v_dual_cndmask_b32 v19, v18, v19, vcc_lo :: v_dual_bitop2_b32 v0, 63, v0 bitop3:0x40
	v_xor_b32_e32 v20, 16, v18
	v_add_nc_u64_e32 v[6:7], v[14:15], v[0:1]
	v_add_nc_u64_e32 v[8:9], v[16:17], v[0:1]
	s_delay_alu instid0(VALU_DEP_4) | instskip(NEXT) | instid1(VALU_DEP_4)
	v_dual_lshlrev_b32 v22, 2, v19 :: v_dual_bitop2_b32 v17, 2, v18 bitop3:0x14
	v_cmp_gt_i32_e32 vcc_lo, 32, v20
	v_xor_b32_e32 v14, 8, v18
	v_dual_add_nc_u32 v28, v11, v0 :: v_dual_bitop2_b32 v16, 4, v18 bitop3:0x14
	v_cndmask_b32_e32 v15, v18, v20, vcc_lo
	s_delay_alu instid0(VALU_DEP_3) | instskip(NEXT) | instid1(VALU_DEP_2)
	v_cmp_gt_i32_e32 vcc_lo, 32, v14
	v_dual_lshlrev_b32 v23, 2, v15 :: v_dual_bitop2_b32 v19, 1, v18 bitop3:0x14
	v_cndmask_b32_e32 v14, v18, v14, vcc_lo
	v_cmp_gt_i32_e32 vcc_lo, 32, v16
	v_cndmask_b32_e32 v16, v18, v16, vcc_lo
	v_cmp_gt_i32_e32 vcc_lo, 32, v17
	s_delay_alu instid0(VALU_DEP_2) | instskip(SKIP_2) | instid1(VALU_DEP_1)
	v_dual_lshlrev_b32 v25, 2, v16 :: v_dual_cndmask_b32 v17, v18, v17, vcc_lo
	v_cmp_gt_i32_e32 vcc_lo, 32, v19
	v_dual_cndmask_b32 v18, v18, v19, vcc_lo :: v_dual_lshlrev_b32 v24, 2, v14
	v_dual_lshlrev_b32 v26, 2, v17 :: v_dual_lshlrev_b32 v27, 2, v18
	s_branch .LBB15_8
.LBB15_6:                               ;   in Loop: Header=BB15_8 Depth=1
	s_or_b32 exec_lo, exec_lo, s18
.LBB15_7:                               ;   in Loop: Header=BB15_8 Depth=1
	s_delay_alu instid0(SALU_CYCLE_1)
	s_or_b32 exec_lo, exec_lo, s4
	ds_bpermute_b32 v12, v22, v14
	ds_bpermute_b32 v13, v22, v15
	s_wait_dscnt 0x0
	v_min_i64 v[12:13], v[12:13], v[14:15]
	ds_bpermute_b32 v14, v23, v12
	ds_bpermute_b32 v15, v23, v13
	s_wait_dscnt 0x0
	v_min_i64 v[12:13], v[14:15], v[12:13]
	;; [unrolled: 4-line block ×6, first 2 shown]
	ds_load_u8 v14, v28
	s_wait_dscnt 0x0
	v_cmp_ne_u16_e32 vcc_lo, 0, v14
	s_bcnt1_i32_b32 s4, vcc_lo
	s_delay_alu instid0(SALU_CYCLE_1) | instskip(NEXT) | instid1(SALU_CYCLE_1)
	s_add_nc_u64 s[16:17], s[16:17], s[4:5]
	v_mov_b64_e32 v[14:15], s[16:17]
	v_cmp_le_i64_e64 s0, s[6:7], v[12:13]
	s_or_b32 s1, s0, s1
	s_delay_alu instid0(SALU_CYCLE_1)
	s_and_not1_b32 exec_lo, exec_lo, s1
	s_cbranch_execz .LBB15_27
.LBB15_8:                               ; =>This Loop Header: Depth=1
                                        ;     Child Loop BB15_11 Depth 2
                                        ;     Child Loop BB15_21 Depth 2
	v_mov_b64_e32 v[14:15], s[6:7]
	s_mov_b32 s4, exec_lo
	ds_store_b8 v28, v1
	s_wait_dscnt 0x0
	v_cmpx_lt_i64_e64 v[6:7], v[2:3]
	s_cbranch_execz .LBB15_18
; %bb.9:                                ;   in Loop: Header=BB15_8 Depth=1
	v_mov_b64_e32 v[14:15], s[6:7]
	v_lshl_add_u64 v[16:17], v[6:7], 3, s[10:11]
	s_mov_b32 s18, 0
	s_branch .LBB15_11
.LBB15_10:                              ;   in Loop: Header=BB15_11 Depth=2
	s_or_b32 exec_lo, exec_lo, s19
	s_delay_alu instid0(SALU_CYCLE_1) | instskip(NEXT) | instid1(SALU_CYCLE_1)
	s_and_b32 s0, exec_lo, s0
	s_or_b32 s18, s0, s18
	s_delay_alu instid0(SALU_CYCLE_1)
	s_and_not1_b32 exec_lo, exec_lo, s18
	s_cbranch_execz .LBB15_17
.LBB15_11:                              ;   Parent Loop BB15_8 Depth=1
                                        ; =>  This Inner Loop Header: Depth=2
	global_load_b64 v[18:19], v[16:17], off
	s_wait_loadcnt 0x0
	v_sub_nc_u64_e64 v[20:21], v[18:19], s[2:3]
	s_delay_alu instid0(VALU_DEP_1) | instskip(NEXT) | instid1(VALU_DEP_1)
	v_sub_nc_u64_e32 v[18:19], v[20:21], v[12:13]
	v_cmp_lt_i64_e64 s0, 63, v[18:19]
	v_cmp_gt_i64_e32 vcc_lo, 64, v[18:19]
	s_wait_xcnt 0x0
	s_and_saveexec_b32 s19, s0
	s_delay_alu instid0(SALU_CYCLE_1)
	s_xor_b32 s0, exec_lo, s19
	s_cbranch_execnz .LBB15_14
; %bb.12:                               ;   in Loop: Header=BB15_11 Depth=2
	s_and_not1_saveexec_b32 s0, s0
	s_cbranch_execnz .LBB15_15
.LBB15_13:                              ;   in Loop: Header=BB15_11 Depth=2
	s_or_b32 exec_lo, exec_lo, s0
	s_mov_b32 s0, -1
	s_and_saveexec_b32 s19, vcc_lo
	s_cbranch_execz .LBB15_10
	s_branch .LBB15_16
.LBB15_14:                              ;   in Loop: Header=BB15_11 Depth=2
	v_min_i64 v[14:15], v[20:21], v[14:15]
                                        ; implicit-def: $vgpr18_vgpr19
	s_and_not1_saveexec_b32 s0, s0
	s_cbranch_execz .LBB15_13
.LBB15_15:                              ;   in Loop: Header=BB15_11 Depth=2
	v_add_nc_u32_e32 v18, v11, v18
	ds_store_b8 v18, v29
	s_or_b32 exec_lo, exec_lo, s0
	s_mov_b32 s0, -1
	s_and_saveexec_b32 s19, vcc_lo
	s_cbranch_execz .LBB15_10
.LBB15_16:                              ;   in Loop: Header=BB15_11 Depth=2
	v_add_nc_u64_e32 v[6:7], 64, v[6:7]
	v_add_nc_u64_e32 v[16:17], 0x200, v[16:17]
	s_delay_alu instid0(VALU_DEP_2)
	v_cmp_ge_i64_e32 vcc_lo, v[6:7], v[2:3]
	s_or_not1_b32 s0, vcc_lo, exec_lo
	s_branch .LBB15_10
.LBB15_17:                              ;   in Loop: Header=BB15_8 Depth=1
	s_or_b32 exec_lo, exec_lo, s18
.LBB15_18:                              ;   in Loop: Header=BB15_8 Depth=1
	s_delay_alu instid0(SALU_CYCLE_1) | instskip(NEXT) | instid1(SALU_CYCLE_1)
	s_or_b32 exec_lo, exec_lo, s4
	s_mov_b32 s4, exec_lo
	v_cmpx_lt_i64_e64 v[8:9], v[4:5]
	s_cbranch_execz .LBB15_7
; %bb.19:                               ;   in Loop: Header=BB15_8 Depth=1
	s_wait_kmcnt 0x0
	v_lshl_add_u64 v[16:17], v[8:9], 3, s[12:13]
	s_mov_b32 s18, 0
	s_branch .LBB15_21
.LBB15_20:                              ;   in Loop: Header=BB15_21 Depth=2
	s_or_b32 exec_lo, exec_lo, s19
	s_delay_alu instid0(SALU_CYCLE_1) | instskip(NEXT) | instid1(SALU_CYCLE_1)
	s_and_b32 s0, exec_lo, s0
	s_or_b32 s18, s0, s18
	s_delay_alu instid0(SALU_CYCLE_1)
	s_and_not1_b32 exec_lo, exec_lo, s18
	s_cbranch_execz .LBB15_6
.LBB15_21:                              ;   Parent Loop BB15_8 Depth=1
                                        ; =>  This Inner Loop Header: Depth=2
	global_load_b64 v[18:19], v[16:17], off
	s_wait_loadcnt 0x0
	v_sub_nc_u64_e64 v[20:21], v[18:19], s[8:9]
	s_delay_alu instid0(VALU_DEP_1) | instskip(NEXT) | instid1(VALU_DEP_1)
	v_sub_nc_u64_e32 v[18:19], v[20:21], v[12:13]
	v_cmp_lt_i64_e64 s0, 63, v[18:19]
	v_cmp_gt_i64_e32 vcc_lo, 64, v[18:19]
	s_and_saveexec_b32 s19, s0
	s_delay_alu instid0(SALU_CYCLE_1)
	s_xor_b32 s0, exec_lo, s19
	s_cbranch_execnz .LBB15_24
; %bb.22:                               ;   in Loop: Header=BB15_21 Depth=2
	s_and_not1_saveexec_b32 s0, s0
	s_cbranch_execnz .LBB15_25
.LBB15_23:                              ;   in Loop: Header=BB15_21 Depth=2
	s_or_b32 exec_lo, exec_lo, s0
	s_mov_b32 s0, -1
	s_and_saveexec_b32 s19, vcc_lo
	s_cbranch_execz .LBB15_20
	s_branch .LBB15_26
.LBB15_24:                              ;   in Loop: Header=BB15_21 Depth=2
	v_min_i64 v[14:15], v[20:21], v[14:15]
                                        ; implicit-def: $vgpr18_vgpr19
	s_and_not1_saveexec_b32 s0, s0
	s_cbranch_execz .LBB15_23
.LBB15_25:                              ;   in Loop: Header=BB15_21 Depth=2
	v_add_nc_u32_e32 v18, v11, v18
	ds_store_b8 v18, v29
	s_or_b32 exec_lo, exec_lo, s0
	s_mov_b32 s0, -1
	s_and_saveexec_b32 s19, vcc_lo
	s_cbranch_execz .LBB15_20
.LBB15_26:                              ;   in Loop: Header=BB15_21 Depth=2
	v_add_nc_u64_e32 v[8:9], 64, v[8:9]
	v_add_nc_u64_e32 v[16:17], 0x200, v[16:17]
	s_delay_alu instid0(VALU_DEP_2)
	v_cmp_ge_i64_e32 vcc_lo, v[8:9], v[4:5]
	s_or_not1_b32 s0, vcc_lo, exec_lo
	s_branch .LBB15_20
.LBB15_27:
	s_or_b32 exec_lo, exec_lo, s1
	v_cmp_eq_u32_e32 vcc_lo, 63, v0
	s_and_b32 exec_lo, exec_lo, vcc_lo
	s_cbranch_execz .LBB15_29
; %bb.28:
	s_wait_kmcnt 0x0
	global_store_b64 v10, v[14:15], s[14:15] scale_offset
.LBB15_29:
	s_endpgm
	.section	.rodata,"a",@progbits
	.p2align	6, 0x0
	.amdhsa_kernel _ZN9rocsparseL28csrgeam_nnz_multipass_deviceILj256ELj64ElllEEvllPKT1_PKT2_S3_S6_PT3_21rocsparse_index_base_S9_
		.amdhsa_group_segment_fixed_size 256
		.amdhsa_private_segment_fixed_size 0
		.amdhsa_kernarg_size 64
		.amdhsa_user_sgpr_count 2
		.amdhsa_user_sgpr_dispatch_ptr 0
		.amdhsa_user_sgpr_queue_ptr 0
		.amdhsa_user_sgpr_kernarg_segment_ptr 1
		.amdhsa_user_sgpr_dispatch_id 0
		.amdhsa_user_sgpr_kernarg_preload_length 0
		.amdhsa_user_sgpr_kernarg_preload_offset 0
		.amdhsa_user_sgpr_private_segment_size 0
		.amdhsa_wavefront_size32 1
		.amdhsa_uses_dynamic_stack 0
		.amdhsa_enable_private_segment 0
		.amdhsa_system_sgpr_workgroup_id_x 1
		.amdhsa_system_sgpr_workgroup_id_y 0
		.amdhsa_system_sgpr_workgroup_id_z 0
		.amdhsa_system_sgpr_workgroup_info 0
		.amdhsa_system_vgpr_workitem_id 0
		.amdhsa_next_free_vgpr 30
		.amdhsa_next_free_sgpr 20
		.amdhsa_named_barrier_count 0
		.amdhsa_reserve_vcc 1
		.amdhsa_float_round_mode_32 0
		.amdhsa_float_round_mode_16_64 0
		.amdhsa_float_denorm_mode_32 3
		.amdhsa_float_denorm_mode_16_64 3
		.amdhsa_fp16_overflow 0
		.amdhsa_memory_ordered 1
		.amdhsa_forward_progress 1
		.amdhsa_inst_pref_size 11
		.amdhsa_round_robin_scheduling 0
		.amdhsa_exception_fp_ieee_invalid_op 0
		.amdhsa_exception_fp_denorm_src 0
		.amdhsa_exception_fp_ieee_div_zero 0
		.amdhsa_exception_fp_ieee_overflow 0
		.amdhsa_exception_fp_ieee_underflow 0
		.amdhsa_exception_fp_ieee_inexact 0
		.amdhsa_exception_int_div_zero 0
	.end_amdhsa_kernel
	.section	.text._ZN9rocsparseL28csrgeam_nnz_multipass_deviceILj256ELj64ElllEEvllPKT1_PKT2_S3_S6_PT3_21rocsparse_index_base_S9_,"axG",@progbits,_ZN9rocsparseL28csrgeam_nnz_multipass_deviceILj256ELj64ElllEEvllPKT1_PKT2_S3_S6_PT3_21rocsparse_index_base_S9_,comdat
.Lfunc_end15:
	.size	_ZN9rocsparseL28csrgeam_nnz_multipass_deviceILj256ELj64ElllEEvllPKT1_PKT2_S3_S6_PT3_21rocsparse_index_base_S9_, .Lfunc_end15-_ZN9rocsparseL28csrgeam_nnz_multipass_deviceILj256ELj64ElllEEvllPKT1_PKT2_S3_S6_PT3_21rocsparse_index_base_S9_
                                        ; -- End function
	.set _ZN9rocsparseL28csrgeam_nnz_multipass_deviceILj256ELj64ElllEEvllPKT1_PKT2_S3_S6_PT3_21rocsparse_index_base_S9_.num_vgpr, 30
	.set _ZN9rocsparseL28csrgeam_nnz_multipass_deviceILj256ELj64ElllEEvllPKT1_PKT2_S3_S6_PT3_21rocsparse_index_base_S9_.num_agpr, 0
	.set _ZN9rocsparseL28csrgeam_nnz_multipass_deviceILj256ELj64ElllEEvllPKT1_PKT2_S3_S6_PT3_21rocsparse_index_base_S9_.numbered_sgpr, 20
	.set _ZN9rocsparseL28csrgeam_nnz_multipass_deviceILj256ELj64ElllEEvllPKT1_PKT2_S3_S6_PT3_21rocsparse_index_base_S9_.num_named_barrier, 0
	.set _ZN9rocsparseL28csrgeam_nnz_multipass_deviceILj256ELj64ElllEEvllPKT1_PKT2_S3_S6_PT3_21rocsparse_index_base_S9_.private_seg_size, 0
	.set _ZN9rocsparseL28csrgeam_nnz_multipass_deviceILj256ELj64ElllEEvllPKT1_PKT2_S3_S6_PT3_21rocsparse_index_base_S9_.uses_vcc, 1
	.set _ZN9rocsparseL28csrgeam_nnz_multipass_deviceILj256ELj64ElllEEvllPKT1_PKT2_S3_S6_PT3_21rocsparse_index_base_S9_.uses_flat_scratch, 0
	.set _ZN9rocsparseL28csrgeam_nnz_multipass_deviceILj256ELj64ElllEEvllPKT1_PKT2_S3_S6_PT3_21rocsparse_index_base_S9_.has_dyn_sized_stack, 0
	.set _ZN9rocsparseL28csrgeam_nnz_multipass_deviceILj256ELj64ElllEEvllPKT1_PKT2_S3_S6_PT3_21rocsparse_index_base_S9_.has_recursion, 0
	.set _ZN9rocsparseL28csrgeam_nnz_multipass_deviceILj256ELj64ElllEEvllPKT1_PKT2_S3_S6_PT3_21rocsparse_index_base_S9_.has_indirect_call, 0
	.section	.AMDGPU.csdata,"",@progbits
; Kernel info:
; codeLenInByte = 1320
; TotalNumSgprs: 22
; NumVgprs: 30
; ScratchSize: 0
; MemoryBound: 0
; FloatMode: 240
; IeeeMode: 1
; LDSByteSize: 256 bytes/workgroup (compile time only)
; SGPRBlocks: 0
; VGPRBlocks: 1
; NumSGPRsForWavesPerEU: 22
; NumVGPRsForWavesPerEU: 30
; NamedBarCnt: 0
; Occupancy: 16
; WaveLimiterHint : 1
; COMPUTE_PGM_RSRC2:SCRATCH_EN: 0
; COMPUTE_PGM_RSRC2:USER_SGPR: 2
; COMPUTE_PGM_RSRC2:TRAP_HANDLER: 0
; COMPUTE_PGM_RSRC2:TGID_X_EN: 1
; COMPUTE_PGM_RSRC2:TGID_Y_EN: 0
; COMPUTE_PGM_RSRC2:TGID_Z_EN: 0
; COMPUTE_PGM_RSRC2:TIDIG_COMP_CNT: 0
	.section	.AMDGPU.gpr_maximums,"",@progbits
	.set amdgpu.max_num_vgpr, 0
	.set amdgpu.max_num_agpr, 0
	.set amdgpu.max_num_sgpr, 0
	.section	.AMDGPU.csdata,"",@progbits
	.type	__hip_cuid_3f3900837fe940bc,@object ; @__hip_cuid_3f3900837fe940bc
	.section	.bss,"aw",@nobits
	.globl	__hip_cuid_3f3900837fe940bc
__hip_cuid_3f3900837fe940bc:
	.byte	0                               ; 0x0
	.size	__hip_cuid_3f3900837fe940bc, 1

	.ident	"AMD clang version 22.0.0git (https://github.com/RadeonOpenCompute/llvm-project roc-7.2.4 26084 f58b06dce1f9c15707c5f808fd002e18c2accf7e)"
	.section	".note.GNU-stack","",@progbits
	.addrsig
	.addrsig_sym __hip_cuid_3f3900837fe940bc
	.amdgpu_metadata
---
amdhsa.kernels:
  - .args:
      - .offset:         0
        .size:           8
        .value_kind:     by_value
      - .offset:         8
        .size:           8
        .value_kind:     by_value
      - .actual_access:  read_only
        .address_space:  global
        .offset:         16
        .size:           8
        .value_kind:     global_buffer
      - .actual_access:  read_only
        .address_space:  global
        .offset:         24
        .size:           8
        .value_kind:     global_buffer
      - .actual_access:  read_only
        .address_space:  global
        .offset:         32
        .size:           8
        .value_kind:     global_buffer
      - .actual_access:  read_only
        .address_space:  global
        .offset:         40
        .size:           8
        .value_kind:     global_buffer
      - .actual_access:  write_only
        .address_space:  global
        .offset:         48
        .size:           8
        .value_kind:     global_buffer
      - .offset:         56
        .size:           4
        .value_kind:     by_value
      - .offset:         60
        .size:           4
        .value_kind:     by_value
    .group_segment_fixed_size: 256
    .kernarg_segment_align: 8
    .kernarg_segment_size: 64
    .language:       OpenCL C
    .language_version:
      - 2
      - 0
    .max_flat_workgroup_size: 256
    .name:           _ZN9rocsparseL28csrgeam_nnz_multipass_deviceILj256ELj32EiiiEEvllPKT1_PKT2_S3_S6_PT3_21rocsparse_index_base_S9_
    .private_segment_fixed_size: 0
    .sgpr_count:     18
    .sgpr_spill_count: 0
    .symbol:         _ZN9rocsparseL28csrgeam_nnz_multipass_deviceILj256ELj32EiiiEEvllPKT1_PKT2_S3_S6_PT3_21rocsparse_index_base_S9_.kd
    .uniform_work_group_size: 1
    .uses_dynamic_stack: false
    .vgpr_count:     20
    .vgpr_spill_count: 0
    .wavefront_size: 32
  - .args:
      - .offset:         0
        .size:           8
        .value_kind:     by_value
      - .offset:         8
        .size:           8
        .value_kind:     by_value
      - .actual_access:  read_only
        .address_space:  global
        .offset:         16
        .size:           8
        .value_kind:     global_buffer
      - .actual_access:  read_only
        .address_space:  global
        .offset:         24
        .size:           8
        .value_kind:     global_buffer
      - .actual_access:  read_only
        .address_space:  global
        .offset:         32
        .size:           8
        .value_kind:     global_buffer
      - .actual_access:  read_only
        .address_space:  global
        .offset:         40
        .size:           8
        .value_kind:     global_buffer
      - .actual_access:  write_only
        .address_space:  global
        .offset:         48
        .size:           8
        .value_kind:     global_buffer
      - .offset:         56
        .size:           4
        .value_kind:     by_value
      - .offset:         60
        .size:           4
        .value_kind:     by_value
    .group_segment_fixed_size: 256
    .kernarg_segment_align: 8
    .kernarg_segment_size: 64
    .language:       OpenCL C
    .language_version:
      - 2
      - 0
    .max_flat_workgroup_size: 256
    .name:           _ZN9rocsparseL28csrgeam_nnz_multipass_deviceILj256ELj32EiilEEvllPKT1_PKT2_S3_S6_PT3_21rocsparse_index_base_S9_
    .private_segment_fixed_size: 0
    .sgpr_count:     20
    .sgpr_spill_count: 0
    .symbol:         _ZN9rocsparseL28csrgeam_nnz_multipass_deviceILj256ELj32EiilEEvllPKT1_PKT2_S3_S6_PT3_21rocsparse_index_base_S9_.kd
    .uniform_work_group_size: 1
    .uses_dynamic_stack: false
    .vgpr_count:     20
    .vgpr_spill_count: 0
    .wavefront_size: 32
  - .args:
      - .offset:         0
        .size:           8
        .value_kind:     by_value
      - .offset:         8
        .size:           8
        .value_kind:     by_value
      - .actual_access:  read_only
        .address_space:  global
        .offset:         16
        .size:           8
        .value_kind:     global_buffer
      - .actual_access:  read_only
        .address_space:  global
        .offset:         24
        .size:           8
        .value_kind:     global_buffer
      - .actual_access:  read_only
        .address_space:  global
        .offset:         32
        .size:           8
        .value_kind:     global_buffer
      - .actual_access:  read_only
        .address_space:  global
        .offset:         40
        .size:           8
        .value_kind:     global_buffer
      - .actual_access:  write_only
        .address_space:  global
        .offset:         48
        .size:           8
        .value_kind:     global_buffer
      - .offset:         56
        .size:           4
        .value_kind:     by_value
      - .offset:         60
        .size:           4
        .value_kind:     by_value
    .group_segment_fixed_size: 256
    .kernarg_segment_align: 8
    .kernarg_segment_size: 64
    .language:       OpenCL C
    .language_version:
      - 2
      - 0
    .max_flat_workgroup_size: 256
    .name:           _ZN9rocsparseL28csrgeam_nnz_multipass_deviceILj256ELj64EiiiEEvllPKT1_PKT2_S3_S6_PT3_21rocsparse_index_base_S9_
    .private_segment_fixed_size: 0
    .sgpr_count:     18
    .sgpr_spill_count: 0
    .symbol:         _ZN9rocsparseL28csrgeam_nnz_multipass_deviceILj256ELj64EiiiEEvllPKT1_PKT2_S3_S6_PT3_21rocsparse_index_base_S9_.kd
    .uniform_work_group_size: 1
    .uses_dynamic_stack: false
    .vgpr_count:     21
    .vgpr_spill_count: 0
    .wavefront_size: 32
  - .args:
      - .offset:         0
        .size:           8
        .value_kind:     by_value
      - .offset:         8
        .size:           8
        .value_kind:     by_value
      - .actual_access:  read_only
        .address_space:  global
        .offset:         16
        .size:           8
        .value_kind:     global_buffer
      - .actual_access:  read_only
        .address_space:  global
        .offset:         24
        .size:           8
        .value_kind:     global_buffer
      - .actual_access:  read_only
        .address_space:  global
        .offset:         32
        .size:           8
        .value_kind:     global_buffer
      - .actual_access:  read_only
        .address_space:  global
        .offset:         40
        .size:           8
        .value_kind:     global_buffer
      - .actual_access:  write_only
        .address_space:  global
        .offset:         48
        .size:           8
        .value_kind:     global_buffer
      - .offset:         56
        .size:           4
        .value_kind:     by_value
      - .offset:         60
        .size:           4
        .value_kind:     by_value
    .group_segment_fixed_size: 256
    .kernarg_segment_align: 8
    .kernarg_segment_size: 64
    .language:       OpenCL C
    .language_version:
      - 2
      - 0
    .max_flat_workgroup_size: 256
    .name:           _ZN9rocsparseL28csrgeam_nnz_multipass_deviceILj256ELj64EiilEEvllPKT1_PKT2_S3_S6_PT3_21rocsparse_index_base_S9_
    .private_segment_fixed_size: 0
    .sgpr_count:     20
    .sgpr_spill_count: 0
    .symbol:         _ZN9rocsparseL28csrgeam_nnz_multipass_deviceILj256ELj64EiilEEvllPKT1_PKT2_S3_S6_PT3_21rocsparse_index_base_S9_.kd
    .uniform_work_group_size: 1
    .uses_dynamic_stack: false
    .vgpr_count:     21
    .vgpr_spill_count: 0
    .wavefront_size: 32
  - .args:
      - .offset:         0
        .size:           8
        .value_kind:     by_value
      - .address_space:  global
        .offset:         8
        .size:           8
        .value_kind:     global_buffer
      - .offset:         16
        .size:           4
        .value_kind:     by_value
    .group_segment_fixed_size: 0
    .kernarg_segment_align: 8
    .kernarg_segment_size: 20
    .language:       OpenCL C
    .language_version:
      - 2
      - 0
    .max_flat_workgroup_size: 256
    .name:           _ZN9rocsparseL21csrgeam_check_row_ptrILj256EilEEvT1_PT0_21rocsparse_index_base_
    .private_segment_fixed_size: 0
    .sgpr_count:     9
    .sgpr_spill_count: 0
    .symbol:         _ZN9rocsparseL21csrgeam_check_row_ptrILj256EilEEvT1_PT0_21rocsparse_index_base_.kd
    .uniform_work_group_size: 1
    .uses_dynamic_stack: false
    .vgpr_count:     2
    .vgpr_spill_count: 0
    .wavefront_size: 32
  - .args:
      - .address_space:  global
        .offset:         0
        .size:           8
        .value_kind:     global_buffer
    .group_segment_fixed_size: 0
    .kernarg_segment_align: 8
    .kernarg_segment_size: 8
    .language:       OpenCL C
    .language_version:
      - 2
      - 0
    .max_flat_workgroup_size: 1
    .name:           _ZN9rocsparseL18csrgeam_index_baseILj1EiEEvPT0_
    .private_segment_fixed_size: 0
    .sgpr_count:     3
    .sgpr_spill_count: 0
    .symbol:         _ZN9rocsparseL18csrgeam_index_baseILj1EiEEvPT0_.kd
    .uniform_work_group_size: 1
    .uses_dynamic_stack: false
    .vgpr_count:     2
    .vgpr_spill_count: 0
    .wavefront_size: 32
  - .args:
      - .offset:         0
        .size:           8
        .value_kind:     by_value
      - .offset:         8
        .size:           8
        .value_kind:     by_value
      - .actual_access:  read_only
        .address_space:  global
        .offset:         16
        .size:           8
        .value_kind:     global_buffer
      - .actual_access:  read_only
        .address_space:  global
        .offset:         24
        .size:           8
        .value_kind:     global_buffer
      - .actual_access:  read_only
        .address_space:  global
        .offset:         32
        .size:           8
        .value_kind:     global_buffer
      - .actual_access:  read_only
        .address_space:  global
        .offset:         40
        .size:           8
        .value_kind:     global_buffer
      - .actual_access:  write_only
        .address_space:  global
        .offset:         48
        .size:           8
        .value_kind:     global_buffer
      - .offset:         56
        .size:           4
        .value_kind:     by_value
      - .offset:         60
        .size:           4
        .value_kind:     by_value
    .group_segment_fixed_size: 256
    .kernarg_segment_align: 8
    .kernarg_segment_size: 64
    .language:       OpenCL C
    .language_version:
      - 2
      - 0
    .max_flat_workgroup_size: 256
    .name:           _ZN9rocsparseL28csrgeam_nnz_multipass_deviceILj256ELj32EliiEEvllPKT1_PKT2_S3_S6_PT3_21rocsparse_index_base_S9_
    .private_segment_fixed_size: 0
    .sgpr_count:     19
    .sgpr_spill_count: 0
    .symbol:         _ZN9rocsparseL28csrgeam_nnz_multipass_deviceILj256ELj32EliiEEvllPKT1_PKT2_S3_S6_PT3_21rocsparse_index_base_S9_.kd
    .uniform_work_group_size: 1
    .uses_dynamic_stack: false
    .vgpr_count:     26
    .vgpr_spill_count: 0
    .wavefront_size: 32
  - .args:
      - .offset:         0
        .size:           8
        .value_kind:     by_value
      - .offset:         8
        .size:           8
        .value_kind:     by_value
      - .actual_access:  read_only
        .address_space:  global
        .offset:         16
        .size:           8
        .value_kind:     global_buffer
      - .actual_access:  read_only
        .address_space:  global
        .offset:         24
        .size:           8
        .value_kind:     global_buffer
      - .actual_access:  read_only
        .address_space:  global
        .offset:         32
        .size:           8
        .value_kind:     global_buffer
      - .actual_access:  read_only
        .address_space:  global
        .offset:         40
        .size:           8
        .value_kind:     global_buffer
      - .actual_access:  write_only
        .address_space:  global
        .offset:         48
        .size:           8
        .value_kind:     global_buffer
      - .offset:         56
        .size:           4
        .value_kind:     by_value
      - .offset:         60
        .size:           4
        .value_kind:     by_value
    .group_segment_fixed_size: 256
    .kernarg_segment_align: 8
    .kernarg_segment_size: 64
    .language:       OpenCL C
    .language_version:
      - 2
      - 0
    .max_flat_workgroup_size: 256
    .name:           _ZN9rocsparseL28csrgeam_nnz_multipass_deviceILj256ELj32ElilEEvllPKT1_PKT2_S3_S6_PT3_21rocsparse_index_base_S9_
    .private_segment_fixed_size: 0
    .sgpr_count:     20
    .sgpr_spill_count: 0
    .symbol:         _ZN9rocsparseL28csrgeam_nnz_multipass_deviceILj256ELj32ElilEEvllPKT1_PKT2_S3_S6_PT3_21rocsparse_index_base_S9_.kd
    .uniform_work_group_size: 1
    .uses_dynamic_stack: false
    .vgpr_count:     26
    .vgpr_spill_count: 0
    .wavefront_size: 32
  - .args:
      - .offset:         0
        .size:           8
        .value_kind:     by_value
      - .offset:         8
        .size:           8
        .value_kind:     by_value
      - .actual_access:  read_only
        .address_space:  global
        .offset:         16
        .size:           8
        .value_kind:     global_buffer
      - .actual_access:  read_only
        .address_space:  global
        .offset:         24
        .size:           8
        .value_kind:     global_buffer
      - .actual_access:  read_only
        .address_space:  global
        .offset:         32
        .size:           8
        .value_kind:     global_buffer
      - .actual_access:  read_only
        .address_space:  global
        .offset:         40
        .size:           8
        .value_kind:     global_buffer
      - .actual_access:  write_only
        .address_space:  global
        .offset:         48
        .size:           8
        .value_kind:     global_buffer
      - .offset:         56
        .size:           4
        .value_kind:     by_value
      - .offset:         60
        .size:           4
        .value_kind:     by_value
    .group_segment_fixed_size: 256
    .kernarg_segment_align: 8
    .kernarg_segment_size: 64
    .language:       OpenCL C
    .language_version:
      - 2
      - 0
    .max_flat_workgroup_size: 256
    .name:           _ZN9rocsparseL28csrgeam_nnz_multipass_deviceILj256ELj64EliiEEvllPKT1_PKT2_S3_S6_PT3_21rocsparse_index_base_S9_
    .private_segment_fixed_size: 0
    .sgpr_count:     19
    .sgpr_spill_count: 0
    .symbol:         _ZN9rocsparseL28csrgeam_nnz_multipass_deviceILj256ELj64EliiEEvllPKT1_PKT2_S3_S6_PT3_21rocsparse_index_base_S9_.kd
    .uniform_work_group_size: 1
    .uses_dynamic_stack: false
    .vgpr_count:     27
    .vgpr_spill_count: 0
    .wavefront_size: 32
  - .args:
      - .offset:         0
        .size:           8
        .value_kind:     by_value
      - .offset:         8
        .size:           8
        .value_kind:     by_value
      - .actual_access:  read_only
        .address_space:  global
        .offset:         16
        .size:           8
        .value_kind:     global_buffer
      - .actual_access:  read_only
        .address_space:  global
        .offset:         24
        .size:           8
        .value_kind:     global_buffer
      - .actual_access:  read_only
        .address_space:  global
        .offset:         32
        .size:           8
        .value_kind:     global_buffer
      - .actual_access:  read_only
        .address_space:  global
        .offset:         40
        .size:           8
        .value_kind:     global_buffer
      - .actual_access:  write_only
        .address_space:  global
        .offset:         48
        .size:           8
        .value_kind:     global_buffer
      - .offset:         56
        .size:           4
        .value_kind:     by_value
      - .offset:         60
        .size:           4
        .value_kind:     by_value
    .group_segment_fixed_size: 256
    .kernarg_segment_align: 8
    .kernarg_segment_size: 64
    .language:       OpenCL C
    .language_version:
      - 2
      - 0
    .max_flat_workgroup_size: 256
    .name:           _ZN9rocsparseL28csrgeam_nnz_multipass_deviceILj256ELj64ElilEEvllPKT1_PKT2_S3_S6_PT3_21rocsparse_index_base_S9_
    .private_segment_fixed_size: 0
    .sgpr_count:     20
    .sgpr_spill_count: 0
    .symbol:         _ZN9rocsparseL28csrgeam_nnz_multipass_deviceILj256ELj64ElilEEvllPKT1_PKT2_S3_S6_PT3_21rocsparse_index_base_S9_.kd
    .uniform_work_group_size: 1
    .uses_dynamic_stack: false
    .vgpr_count:     27
    .vgpr_spill_count: 0
    .wavefront_size: 32
  - .args:
      - .offset:         0
        .size:           8
        .value_kind:     by_value
      - .address_space:  global
        .offset:         8
        .size:           8
        .value_kind:     global_buffer
      - .offset:         16
        .size:           4
        .value_kind:     by_value
    .group_segment_fixed_size: 0
    .kernarg_segment_align: 8
    .kernarg_segment_size: 20
    .language:       OpenCL C
    .language_version:
      - 2
      - 0
    .max_flat_workgroup_size: 256
    .name:           _ZN9rocsparseL21csrgeam_check_row_ptrILj256EllEEvT1_PT0_21rocsparse_index_base_
    .private_segment_fixed_size: 0
    .sgpr_count:     10
    .sgpr_spill_count: 0
    .symbol:         _ZN9rocsparseL21csrgeam_check_row_ptrILj256EllEEvT1_PT0_21rocsparse_index_base_.kd
    .uniform_work_group_size: 1
    .uses_dynamic_stack: false
    .vgpr_count:     3
    .vgpr_spill_count: 0
    .wavefront_size: 32
  - .args:
      - .address_space:  global
        .offset:         0
        .size:           8
        .value_kind:     global_buffer
    .group_segment_fixed_size: 0
    .kernarg_segment_align: 8
    .kernarg_segment_size: 8
    .language:       OpenCL C
    .language_version:
      - 2
      - 0
    .max_flat_workgroup_size: 1
    .name:           _ZN9rocsparseL18csrgeam_index_baseILj1ElEEvPT0_
    .private_segment_fixed_size: 0
    .sgpr_count:     4
    .sgpr_spill_count: 0
    .symbol:         _ZN9rocsparseL18csrgeam_index_baseILj1ElEEvPT0_.kd
    .uniform_work_group_size: 1
    .uses_dynamic_stack: false
    .vgpr_count:     3
    .vgpr_spill_count: 0
    .wavefront_size: 32
  - .args:
      - .offset:         0
        .size:           8
        .value_kind:     by_value
      - .offset:         8
        .size:           8
        .value_kind:     by_value
      - .actual_access:  read_only
        .address_space:  global
        .offset:         16
        .size:           8
        .value_kind:     global_buffer
      - .actual_access:  read_only
        .address_space:  global
        .offset:         24
        .size:           8
        .value_kind:     global_buffer
      - .actual_access:  read_only
        .address_space:  global
        .offset:         32
        .size:           8
        .value_kind:     global_buffer
      - .actual_access:  read_only
        .address_space:  global
        .offset:         40
        .size:           8
        .value_kind:     global_buffer
      - .actual_access:  write_only
        .address_space:  global
        .offset:         48
        .size:           8
        .value_kind:     global_buffer
      - .offset:         56
        .size:           4
        .value_kind:     by_value
      - .offset:         60
        .size:           4
        .value_kind:     by_value
    .group_segment_fixed_size: 256
    .kernarg_segment_align: 8
    .kernarg_segment_size: 64
    .language:       OpenCL C
    .language_version:
      - 2
      - 0
    .max_flat_workgroup_size: 256
    .name:           _ZN9rocsparseL28csrgeam_nnz_multipass_deviceILj256ELj32ElliEEvllPKT1_PKT2_S3_S6_PT3_21rocsparse_index_base_S9_
    .private_segment_fixed_size: 0
    .sgpr_count:     20
    .sgpr_spill_count: 0
    .symbol:         _ZN9rocsparseL28csrgeam_nnz_multipass_deviceILj256ELj32ElliEEvllPKT1_PKT2_S3_S6_PT3_21rocsparse_index_base_S9_.kd
    .uniform_work_group_size: 1
    .uses_dynamic_stack: false
    .vgpr_count:     29
    .vgpr_spill_count: 0
    .wavefront_size: 32
  - .args:
      - .offset:         0
        .size:           8
        .value_kind:     by_value
      - .offset:         8
        .size:           8
        .value_kind:     by_value
      - .actual_access:  read_only
        .address_space:  global
        .offset:         16
        .size:           8
        .value_kind:     global_buffer
      - .actual_access:  read_only
        .address_space:  global
        .offset:         24
        .size:           8
        .value_kind:     global_buffer
      - .actual_access:  read_only
        .address_space:  global
        .offset:         32
        .size:           8
        .value_kind:     global_buffer
      - .actual_access:  read_only
        .address_space:  global
        .offset:         40
        .size:           8
        .value_kind:     global_buffer
      - .actual_access:  write_only
        .address_space:  global
        .offset:         48
        .size:           8
        .value_kind:     global_buffer
      - .offset:         56
        .size:           4
        .value_kind:     by_value
      - .offset:         60
        .size:           4
        .value_kind:     by_value
    .group_segment_fixed_size: 256
    .kernarg_segment_align: 8
    .kernarg_segment_size: 64
    .language:       OpenCL C
    .language_version:
      - 2
      - 0
    .max_flat_workgroup_size: 256
    .name:           _ZN9rocsparseL28csrgeam_nnz_multipass_deviceILj256ELj32ElllEEvllPKT1_PKT2_S3_S6_PT3_21rocsparse_index_base_S9_
    .private_segment_fixed_size: 0
    .sgpr_count:     22
    .sgpr_spill_count: 0
    .symbol:         _ZN9rocsparseL28csrgeam_nnz_multipass_deviceILj256ELj32ElllEEvllPKT1_PKT2_S3_S6_PT3_21rocsparse_index_base_S9_.kd
    .uniform_work_group_size: 1
    .uses_dynamic_stack: false
    .vgpr_count:     29
    .vgpr_spill_count: 0
    .wavefront_size: 32
  - .args:
      - .offset:         0
        .size:           8
        .value_kind:     by_value
      - .offset:         8
        .size:           8
        .value_kind:     by_value
      - .actual_access:  read_only
        .address_space:  global
        .offset:         16
        .size:           8
        .value_kind:     global_buffer
      - .actual_access:  read_only
        .address_space:  global
        .offset:         24
        .size:           8
        .value_kind:     global_buffer
      - .actual_access:  read_only
        .address_space:  global
        .offset:         32
        .size:           8
        .value_kind:     global_buffer
      - .actual_access:  read_only
        .address_space:  global
        .offset:         40
        .size:           8
        .value_kind:     global_buffer
      - .actual_access:  write_only
        .address_space:  global
        .offset:         48
        .size:           8
        .value_kind:     global_buffer
      - .offset:         56
        .size:           4
        .value_kind:     by_value
      - .offset:         60
        .size:           4
        .value_kind:     by_value
    .group_segment_fixed_size: 256
    .kernarg_segment_align: 8
    .kernarg_segment_size: 64
    .language:       OpenCL C
    .language_version:
      - 2
      - 0
    .max_flat_workgroup_size: 256
    .name:           _ZN9rocsparseL28csrgeam_nnz_multipass_deviceILj256ELj64ElliEEvllPKT1_PKT2_S3_S6_PT3_21rocsparse_index_base_S9_
    .private_segment_fixed_size: 0
    .sgpr_count:     20
    .sgpr_spill_count: 0
    .symbol:         _ZN9rocsparseL28csrgeam_nnz_multipass_deviceILj256ELj64ElliEEvllPKT1_PKT2_S3_S6_PT3_21rocsparse_index_base_S9_.kd
    .uniform_work_group_size: 1
    .uses_dynamic_stack: false
    .vgpr_count:     30
    .vgpr_spill_count: 0
    .wavefront_size: 32
  - .args:
      - .offset:         0
        .size:           8
        .value_kind:     by_value
      - .offset:         8
        .size:           8
        .value_kind:     by_value
      - .actual_access:  read_only
        .address_space:  global
        .offset:         16
        .size:           8
        .value_kind:     global_buffer
      - .actual_access:  read_only
        .address_space:  global
        .offset:         24
        .size:           8
        .value_kind:     global_buffer
      - .actual_access:  read_only
        .address_space:  global
        .offset:         32
        .size:           8
        .value_kind:     global_buffer
      - .actual_access:  read_only
        .address_space:  global
        .offset:         40
        .size:           8
        .value_kind:     global_buffer
      - .actual_access:  write_only
        .address_space:  global
        .offset:         48
        .size:           8
        .value_kind:     global_buffer
      - .offset:         56
        .size:           4
        .value_kind:     by_value
      - .offset:         60
        .size:           4
        .value_kind:     by_value
    .group_segment_fixed_size: 256
    .kernarg_segment_align: 8
    .kernarg_segment_size: 64
    .language:       OpenCL C
    .language_version:
      - 2
      - 0
    .max_flat_workgroup_size: 256
    .name:           _ZN9rocsparseL28csrgeam_nnz_multipass_deviceILj256ELj64ElllEEvllPKT1_PKT2_S3_S6_PT3_21rocsparse_index_base_S9_
    .private_segment_fixed_size: 0
    .sgpr_count:     22
    .sgpr_spill_count: 0
    .symbol:         _ZN9rocsparseL28csrgeam_nnz_multipass_deviceILj256ELj64ElllEEvllPKT1_PKT2_S3_S6_PT3_21rocsparse_index_base_S9_.kd
    .uniform_work_group_size: 1
    .uses_dynamic_stack: false
    .vgpr_count:     30
    .vgpr_spill_count: 0
    .wavefront_size: 32
amdhsa.target:   amdgcn-amd-amdhsa--gfx1250
amdhsa.version:
  - 1
  - 2
...

	.end_amdgpu_metadata
